;; amdgpu-corpus repo=LLNL/RAJAPerf kind=compiled arch=gfx906 opt=O3
	.amdgcn_target "amdgcn-amd-amdhsa--gfx906"
	.amdhsa_code_object_version 6
	.section	.text._ZN8rajaperf4apps15MassVec3DPALoopILm64EEEvPdS2_S2_S2_,"axG",@progbits,_ZN8rajaperf4apps15MassVec3DPALoopILm64EEEvPdS2_S2_S2_,comdat
	.protected	_ZN8rajaperf4apps15MassVec3DPALoopILm64EEEvPdS2_S2_S2_ ; -- Begin function _ZN8rajaperf4apps15MassVec3DPALoopILm64EEEvPdS2_S2_S2_
	.globl	_ZN8rajaperf4apps15MassVec3DPALoopILm64EEEvPdS2_S2_S2_
	.p2align	8
	.type	_ZN8rajaperf4apps15MassVec3DPALoopILm64EEEvPdS2_S2_S2_,@function
_ZN8rajaperf4apps15MassVec3DPALoopILm64EEEvPdS2_S2_S2_: ; @_ZN8rajaperf4apps15MassVec3DPALoopILm64EEEvPdS2_S2_S2_
; %bb.0:
	v_mov_b32_e32 v4, v1
	v_mov_b32_e32 v5, 0
	v_cmp_ne_u32_e32 vcc, 0, v2
	v_cmp_lt_u32_e64 s[2:3], 2, v4
	v_lshlrev_b64 v[6:7], 5, v[4:5]
	v_mov_b32_e32 v9, v5
                                        ; kill: def $vgpr0 killed $vgpr0 def $vgpr1
	v_cmp_gt_u32_e64 s[0:1], 3, v4
	s_or_b64 s[8:9], vcc, s[2:3]
	v_lshlrev_b32_e32 v18, 3, v0
	v_mov_b32_e32 v8, v4
                                        ; implicit-def: $sgpr2_sgpr3
	s_and_saveexec_b64 s[10:11], s[8:9]
	s_xor_b64 s[8:9], exec, s[10:11]
                                        ; implicit-def: $vgpr19
; %bb.1:
	s_add_u32 s2, s4, 32
	v_lshlrev_b64 v[6:7], 5, v[4:5]
	v_mov_b32_e32 v1, v5
	s_addc_u32 s3, s5, 0
	v_mov_b32_e32 v19, v5
                                        ; implicit-def: $vgpr8_vgpr9
; %bb.2:
	s_or_saveexec_b64 s[8:9], s[8:9]
	s_load_dwordx8 s[12:19], s[4:5], 0x0
	v_mov_b32_e32 v15, s3
	v_mov_b32_e32 v14, s2
	s_xor_b64 exec, exec, s[8:9]
	s_cbranch_execz .LBB0_9
; %bb.3:
	s_load_dword s2, s[4:5], 0x2c
	s_add_u32 s4, s4, 32
	s_addc_u32 s5, s5, 0
	s_waitcnt lgkmcnt(0)
	v_mov_b32_e32 v12, s13
	v_mov_b32_e32 v1, 0
	s_lshr_b32 s7, s2, 16
	v_add_co_u32_e64 v3, s[2:3], v6, v18
	v_addc_co_u32_e64 v11, s[2:3], 0, v7, s[2:3]
	v_add_co_u32_e64 v10, s[2:3], s12, v3
	v_addc_co_u32_e64 v11, s[2:3], v12, v11, s[2:3]
	v_lshlrev_b32_e32 v3, 5, v4
	s_movk_i32 s2, 0x460
	v_add3_u32 v3, v3, v18, s2
	v_mul_u32_u24_e32 v12, 24, v0
	v_lshlrev_b32_e32 v13, 3, v4
	s_movk_i32 s2, 0x400
	v_cmp_gt_u32_e32 vcc, 4, v0
	v_mov_b32_e32 v19, v1
	s_lshl_b32 s22, s7, 5
	v_add3_u32 v16, v12, v13, s2
	s_lshl_b32 s23, s7, 3
	s_mov_b64 s[10:11], 0
	s_branch .LBB0_5
.LBB0_4:                                ;   in Loop: Header=BB0_5 Depth=1
	s_or_b64 exec, exec, s[12:13]
	v_add_co_u32_e64 v8, s[2:3], s7, v8
	v_addc_co_u32_e64 v9, s[2:3], 0, v9, s[2:3]
	v_add_co_u32_e64 v10, s[2:3], s22, v10
	v_addc_co_u32_e64 v11, s[2:3], 0, v11, s[2:3]
	v_cmp_lt_u64_e64 s[2:3], 2, v[8:9]
	v_add_u32_e32 v3, s22, v3
	s_or_b64 s[10:11], s[2:3], s[10:11]
	v_add_u32_e32 v16, s23, v16
	s_andn2_b64 exec, exec, s[10:11]
	s_cbranch_execz .LBB0_8
.LBB0_5:                                ; =>This Loop Header: Depth=1
                                        ;     Child Loop BB0_7 Depth 2
	s_and_saveexec_b64 s[12:13], vcc
	s_cbranch_execz .LBB0_4
; %bb.6:                                ;   in Loop: Header=BB0_5 Depth=1
	s_load_dword s2, s[4:5], 0xc
	v_mov_b32_e32 v13, v11
	v_mov_b32_e32 v15, v1
	s_mov_b64 s[20:21], 0
	v_mov_b32_e32 v17, v16
	s_waitcnt lgkmcnt(0)
	s_and_b32 s24, s2, 0xffff
	v_mov_b32_e32 v20, v3
	s_lshl_b32 s25, s24, 3
	s_mul_i32 s26, s24, 24
	v_mov_b32_e32 v12, v10
	v_mov_b32_e32 v14, v0
.LBB0_7:                                ;   Parent Loop BB0_5 Depth=1
                                        ; =>  This Inner Loop Header: Depth=2
	global_load_dwordx2 v[21:22], v[12:13], off
	v_add_co_u32_e64 v14, s[2:3], s24, v14
	v_addc_co_u32_e64 v15, s[2:3], 0, v15, s[2:3]
	v_add_co_u32_e64 v12, s[2:3], s25, v12
	v_addc_co_u32_e64 v13, s[2:3], 0, v13, s[2:3]
	v_cmp_lt_u64_e64 s[2:3], 3, v[14:15]
	s_waitcnt vmcnt(0)
	ds_write_b64 v17, v[21:22]
	ds_write_b64 v20, v[21:22]
	s_or_b64 s[20:21], s[2:3], s[20:21]
	v_add_u32_e32 v20, s25, v20
	v_add_u32_e32 v17, s26, v17
	s_andn2_b64 exec, exec, s[20:21]
	s_cbranch_execnz .LBB0_7
	s_branch .LBB0_4
.LBB0_8:
	s_or_b64 exec, exec, s[10:11]
	v_mov_b32_e32 v15, s5
	v_mov_b32_e32 v14, s4
.LBB0_9:
	s_or_b64 exec, exec, s[8:9]
	v_mul_hi_u32_u24_e32 v9, 0x48, v2
	v_mul_u32_u24_e32 v8, 0x48, v2
	v_mov_b32_e32 v10, 0x288
	v_mad_u64_u32 v[8:9], s[8:9], s6, v10, v[8:9]
	s_mov_b32 s7, 0
	s_waitcnt lgkmcnt(0)
	v_mov_b32_e32 v10, s17
	v_mad_u64_u32 v[8:9], s[20:21], v4, 24, v[8:9]
	s_lshl_b64 s[6:7], s[6:7], 9
	v_lshlrev_b32_e32 v13, 7, v2
	v_add_co_u32_e32 v8, vcc, v8, v18
	v_addc_co_u32_e32 v9, vcc, v9, v19, vcc
	v_add_co_u32_e32 v16, vcc, s16, v8
	v_addc_co_u32_e32 v17, vcc, v10, v9, vcc
	v_mov_b32_e32 v20, s7
	v_add_co_u32_e32 v21, vcc, s6, v13
	v_addc_co_u32_e32 v20, vcc, 0, v20, vcc
	v_lshlrev_b32_e32 v10, 3, v0
	v_add_co_u32_e32 v6, vcc, v21, v6
	s_movk_i32 s6, 0x60
	v_addc_co_u32_e32 v7, vcc, v20, v7, vcc
	v_lshlrev_b32_e32 v22, 5, v4
	v_mad_u32_u24 v38, v2, s6, v10
	s_movk_i32 s6, 0x200
	v_mul_lo_u32 v11, v4, 24
	v_add_co_u32_e32 v6, vcc, v6, v18
	v_add3_u32 v39, v38, v22, s6
	v_add_u32_e32 v40, v22, v10
	v_mov_b32_e32 v22, 0x400
	v_addc_co_u32_e32 v7, vcc, v7, v19, vcc
	v_mov_b32_e32 v23, 0
	v_mov_b32_e32 v19, s15
	v_add_co_u32_e32 v18, vcc, s14, v6
	v_mad_u64_u32 v[24:25], s[6:7], v0, 24, v[22:23]
	v_addc_co_u32_e32 v19, vcc, v19, v7, vcc
	s_movk_i32 s28, 0x48
	v_add_u32_e32 v12, v11, v10
	v_mov_b32_e32 v6, s19
	v_add_co_u32_e32 v20, vcc, s18, v8
	v_mov_b32_e32 v3, 0
	v_cmp_gt_u32_e64 s[2:3], 3, v2
	v_cmp_gt_u32_e64 s[4:5], 4, v2
	;; [unrolled: 1-line block ×5, first 2 shown]
	v_mad_u32_u24 v37, v2, s28, v12
	v_addc_co_u32_e32 v21, vcc, v6, v9, vcc
	v_add_u32_e32 v41, v40, v13
	v_add_u32_e32 v42, v38, v11
	;; [unrolled: 1-line block ×3, first 2 shown]
	s_mov_b64 s[14:15], 0
	v_mov_b32_e32 v44, 0x460
	s_branch .LBB0_11
.LBB0_10:                               ;   in Loop: Header=BB0_11 Depth=1
	s_or_b64 exec, exec, s[16:17]
	v_add_co_u32_e32 v16, vcc, 0xd8, v16
	s_add_u32 s14, s14, 1
	v_addc_co_u32_e32 v17, vcc, 0, v17, vcc
	s_addc_u32 s15, s15, 0
	v_add_co_u32_e32 v20, vcc, 0xd8, v20
	s_cmp_eq_u64 s[14:15], 3
	v_addc_co_u32_e32 v21, vcc, 0, v21, vcc
	; wave barrier
	s_cbranch_scc1 .LBB0_74
.LBB0_11:                               ; =>This Loop Header: Depth=1
                                        ;     Child Loop BB0_14 Depth 2
                                        ;       Child Loop BB0_17 Depth 3
                                        ;         Child Loop BB0_19 Depth 4
                                        ;     Child Loop BB0_23 Depth 2
                                        ;       Child Loop BB0_26 Depth 3
                                        ;         Child Loop BB0_28 Depth 4
	;; [unrolled: 3-line block ×7, first 2 shown]
	s_and_saveexec_b64 s[16:17], s[2:3]
	s_cbranch_execz .LBB0_20
; %bb.12:                               ;   in Loop: Header=BB0_11 Depth=1
	global_load_ushort v8, v[14:15], off offset:16
	v_mov_b32_e32 v6, v16
	s_mov_b64 s[18:19], 0
	v_mov_b32_e32 v29, v37
	v_mov_b32_e32 v7, v17
	s_waitcnt vmcnt(0)
	v_and_b32_e32 v30, 0xffff, v8
	v_mov_b32_e32 v9, v3
	v_mul_hi_u32_u24_e32 v31, 0x48, v30
	v_mul_u32_u24_e32 v32, 0x48, v30
	v_mov_b32_e32 v8, v2
	s_branch .LBB0_14
.LBB0_13:                               ;   in Loop: Header=BB0_14 Depth=2
	s_or_b64 exec, exec, s[20:21]
	v_add_co_u32_e32 v8, vcc, v8, v30
	v_addc_co_u32_e32 v9, vcc, 0, v9, vcc
	v_cmp_lt_u64_e32 vcc, 2, v[8:9]
	v_add_co_u32_e64 v6, s[6:7], v6, v32
	v_addc_co_u32_e64 v7, s[6:7], v7, v31, s[6:7]
	s_or_b64 s[18:19], vcc, s[18:19]
	v_add_u32_e32 v29, v29, v32
	s_andn2_b64 exec, exec, s[18:19]
	s_cbranch_execz .LBB0_20
.LBB0_14:                               ;   Parent Loop BB0_11 Depth=1
                                        ; =>  This Loop Header: Depth=2
                                        ;       Child Loop BB0_17 Depth 3
                                        ;         Child Loop BB0_19 Depth 4
	s_and_saveexec_b64 s[20:21], s[0:1]
	s_cbranch_execz .LBB0_13
; %bb.15:                               ;   in Loop: Header=BB0_14 Depth=2
	global_load_ushort v12, v[14:15], off offset:14
	v_mov_b32_e32 v11, v7
	s_mov_b64 s[22:23], 0
	v_mov_b32_e32 v33, v29
	v_mov_b32_e32 v10, v6
	s_waitcnt vmcnt(0)
	v_and_b32_e32 v34, 0xffff, v12
	v_mov_b32_e32 v13, v5
	v_mul_hi_u32_u24_e32 v35, 24, v34
	v_mul_u32_u24_e32 v36, 24, v34
	v_mov_b32_e32 v12, v4
	s_branch .LBB0_17
.LBB0_16:                               ;   in Loop: Header=BB0_17 Depth=3
	s_or_b64 exec, exec, s[6:7]
	v_add_co_u32_e32 v12, vcc, v12, v34
	v_addc_co_u32_e32 v13, vcc, 0, v13, vcc
	v_cmp_lt_u64_e32 vcc, 2, v[12:13]
	v_add_co_u32_e64 v10, s[6:7], v10, v36
	v_addc_co_u32_e64 v11, s[6:7], v11, v35, s[6:7]
	s_or_b64 s[22:23], vcc, s[22:23]
	v_add_u32_e32 v33, v33, v36
	s_andn2_b64 exec, exec, s[22:23]
	s_cbranch_execz .LBB0_13
.LBB0_17:                               ;   Parent Loop BB0_11 Depth=1
                                        ;     Parent Loop BB0_14 Depth=2
                                        ; =>    This Loop Header: Depth=3
                                        ;         Child Loop BB0_19 Depth 4
	s_and_saveexec_b64 s[6:7], s[12:13]
	s_cbranch_execz .LBB0_16
; %bb.18:                               ;   in Loop: Header=BB0_17 Depth=3
	global_load_ushort v27, v[14:15], off offset:12
	v_mov_b32_e32 v26, v11
	s_mov_b64 s[24:25], 0
	v_mov_b32_e32 v45, v33
	v_mov_b32_e32 v25, v10
	s_waitcnt vmcnt(0)
	v_and_b32_e32 v46, 0xffff, v27
	v_mov_b32_e32 v28, v1
	v_lshlrev_b32_e32 v47, 3, v46
	v_mov_b32_e32 v27, v0
.LBB0_19:                               ;   Parent Loop BB0_11 Depth=1
                                        ;     Parent Loop BB0_14 Depth=2
                                        ;       Parent Loop BB0_17 Depth=3
                                        ; =>      This Inner Loop Header: Depth=4
	global_load_dwordx2 v[48:49], v[25:26], off
	v_add_co_u32_e32 v27, vcc, v27, v46
	v_addc_co_u32_e32 v28, vcc, 0, v28, vcc
	v_add_co_u32_e32 v25, vcc, v25, v47
	v_addc_co_u32_e32 v26, vcc, 0, v26, vcc
	v_cmp_lt_u64_e32 vcc, 2, v[27:28]
	s_or_b64 s[24:25], vcc, s[24:25]
	s_waitcnt vmcnt(0)
	ds_write_b64 v45, v[48:49]
	v_add_u32_e32 v45, v45, v47
	s_andn2_b64 exec, exec, s[24:25]
	s_cbranch_execnz .LBB0_19
	s_branch .LBB0_16
.LBB0_20:                               ;   in Loop: Header=BB0_11 Depth=1
	s_or_b64 exec, exec, s[16:17]
	s_waitcnt lgkmcnt(0)
	; wave barrier
	s_and_saveexec_b64 s[6:7], s[2:3]
	s_cbranch_execz .LBB0_29
; %bb.21:                               ;   in Loop: Header=BB0_11 Depth=1
	global_load_ushort v6, v[14:15], off offset:16
	v_mov_b32_e32 v11, v3
	s_mov_b64 s[16:17], 0
	v_mov_b32_e32 v13, v39
	v_mov_b32_e32 v10, v2
	s_waitcnt vmcnt(0)
	v_and_b32_e32 v31, 0xffff, v6
	v_mul_u32_u24_e32 v32, 0x60, v31
	s_branch .LBB0_23
.LBB0_22:                               ;   in Loop: Header=BB0_23 Depth=2
	s_or_b64 exec, exec, s[18:19]
	v_add_co_u32_e32 v10, vcc, v10, v31
	v_addc_co_u32_e32 v11, vcc, 0, v11, vcc
	v_cmp_lt_u64_e32 vcc, 2, v[10:11]
	v_add_u32_e32 v13, v13, v32
	s_or_b64 s[16:17], vcc, s[16:17]
	s_andn2_b64 exec, exec, s[16:17]
	s_cbranch_execz .LBB0_29
.LBB0_23:                               ;   Parent Loop BB0_11 Depth=1
                                        ; =>  This Loop Header: Depth=2
                                        ;       Child Loop BB0_26 Depth 3
                                        ;         Child Loop BB0_28 Depth 4
	s_and_saveexec_b64 s[18:19], s[0:1]
	s_cbranch_execz .LBB0_22
; %bb.24:                               ;   in Loop: Header=BB0_23 Depth=2
	global_load_ushort v6, v[14:15], off offset:14
	v_mul_lo_u32 v12, v10, s28
	v_mov_b32_e32 v26, v5
	s_mov_b64 s[20:21], 0
	v_mov_b32_e32 v33, v13
	v_mov_b32_e32 v25, v4
	s_waitcnt vmcnt(0)
	v_and_b32_e32 v34, 0xffff, v6
	v_lshlrev_b32_e32 v35, 5, v34
	s_branch .LBB0_26
.LBB0_25:                               ;   in Loop: Header=BB0_26 Depth=3
	s_or_b64 exec, exec, s[22:23]
	v_add_co_u32_e32 v25, vcc, v25, v34
	v_addc_co_u32_e32 v26, vcc, 0, v26, vcc
	v_cmp_lt_u64_e32 vcc, 2, v[25:26]
	v_add_u32_e32 v33, v33, v35
	s_or_b64 s[20:21], vcc, s[20:21]
	s_andn2_b64 exec, exec, s[20:21]
	s_cbranch_execz .LBB0_22
.LBB0_26:                               ;   Parent Loop BB0_11 Depth=1
                                        ;     Parent Loop BB0_23 Depth=2
                                        ; =>    This Loop Header: Depth=3
                                        ;         Child Loop BB0_28 Depth 4
	s_and_saveexec_b64 s[22:23], s[8:9]
	s_cbranch_execz .LBB0_25
; %bb.27:                               ;   in Loop: Header=BB0_26 Depth=3
	global_load_ushort v29, v[14:15], off offset:12
	v_mad_u64_u32 v[27:28], s[24:25], v25, 24, v[12:13]
	s_mov_b64 s[24:25], 0
	ds_read2_b64 v[6:9], v27 offset1:1
	ds_read_b64 v[27:28], v27 offset:16
	v_mov_b32_e32 v36, v24
	v_mov_b32_e32 v45, v33
	s_waitcnt vmcnt(0)
	v_and_b32_e32 v46, 0xffff, v29
	v_mov_b32_e32 v30, v1
	v_lshlrev_b32_e32 v47, 3, v46
	v_mul_u32_u24_e32 v48, 24, v46
	v_mov_b32_e32 v29, v0
.LBB0_28:                               ;   Parent Loop BB0_11 Depth=1
                                        ;     Parent Loop BB0_23 Depth=2
                                        ;       Parent Loop BB0_26 Depth=3
                                        ; =>      This Inner Loop Header: Depth=4
	ds_read2_b64 v[49:52], v36 offset1:1
	ds_read_b64 v[53:54], v36 offset:16
	v_add_co_u32_e32 v29, vcc, v29, v46
	v_addc_co_u32_e32 v30, vcc, 0, v30, vcc
	s_waitcnt lgkmcnt(1)
	v_fma_f64 v[49:50], v[6:7], v[49:50], 0
	v_cmp_lt_u64_e32 vcc, 3, v[29:30]
	v_add_u32_e32 v36, v36, v48
	s_or_b64 s[24:25], vcc, s[24:25]
	v_fma_f64 v[49:50], v[8:9], v[51:52], v[49:50]
	s_waitcnt lgkmcnt(0)
	v_fma_f64 v[49:50], v[27:28], v[53:54], v[49:50]
	ds_write_b64 v45, v[49:50]
	v_add_u32_e32 v45, v45, v47
	s_andn2_b64 exec, exec, s[24:25]
	s_cbranch_execnz .LBB0_28
	s_branch .LBB0_25
.LBB0_29:                               ;   in Loop: Header=BB0_11 Depth=1
	s_or_b64 exec, exec, s[6:7]
	s_waitcnt lgkmcnt(0)
	; wave barrier
	s_and_saveexec_b64 s[6:7], s[2:3]
	s_cbranch_execz .LBB0_38
; %bb.30:                               ;   in Loop: Header=BB0_11 Depth=1
	global_load_ushort v6, v[14:15], off offset:16
	v_mov_b32_e32 v11, v3
	s_mov_b64 s[16:17], 0
	v_add_u32_e32 v30, 0x200, v38
	v_mov_b32_e32 v29, v41
	v_mov_b32_e32 v10, v2
	s_waitcnt vmcnt(0)
	v_and_b32_e32 v31, 0xffff, v6
	v_lshlrev_b32_e32 v32, 7, v31
	v_mul_u32_u24_e32 v33, 0x60, v31
	s_branch .LBB0_32
.LBB0_31:                               ;   in Loop: Header=BB0_32 Depth=2
	s_or_b64 exec, exec, s[18:19]
	v_add_co_u32_e32 v10, vcc, v10, v31
	v_addc_co_u32_e32 v11, vcc, 0, v11, vcc
	v_cmp_lt_u64_e32 vcc, 2, v[10:11]
	v_add_u32_e32 v29, v29, v32
	s_or_b64 s[16:17], vcc, s[16:17]
	v_add_u32_e32 v30, v30, v33
	s_andn2_b64 exec, exec, s[16:17]
	s_cbranch_execz .LBB0_38
.LBB0_32:                               ;   Parent Loop BB0_11 Depth=1
                                        ; =>  This Loop Header: Depth=2
                                        ;       Child Loop BB0_35 Depth 3
                                        ;         Child Loop BB0_37 Depth 4
	s_and_saveexec_b64 s[18:19], s[10:11]
	s_cbranch_execz .LBB0_31
; %bb.33:                               ;   in Loop: Header=BB0_32 Depth=2
	global_load_ushort v6, v[14:15], off offset:14
	v_mov_b32_e32 v13, v5
	s_mov_b64 s[20:21], 0
	v_mov_b32_e32 v34, v29
	v_mov_b32_e32 v12, v4
	s_waitcnt vmcnt(0)
	v_and_b32_e32 v35, 0xffff, v6
	v_lshlrev_b32_e32 v36, 5, v35
	s_branch .LBB0_35
.LBB0_34:                               ;   in Loop: Header=BB0_35 Depth=3
	s_or_b64 exec, exec, s[22:23]
	v_add_co_u32_e32 v12, vcc, v12, v35
	v_addc_co_u32_e32 v13, vcc, 0, v13, vcc
	v_cmp_lt_u64_e32 vcc, 3, v[12:13]
	v_add_u32_e32 v34, v34, v36
	s_or_b64 s[20:21], vcc, s[20:21]
	s_andn2_b64 exec, exec, s[20:21]
	s_cbranch_execz .LBB0_31
.LBB0_35:                               ;   Parent Loop BB0_11 Depth=1
                                        ;     Parent Loop BB0_32 Depth=2
                                        ; =>    This Loop Header: Depth=3
                                        ;         Child Loop BB0_37 Depth 4
	s_and_saveexec_b64 s[22:23], s[8:9]
	s_cbranch_execz .LBB0_34
; %bb.36:                               ;   in Loop: Header=BB0_35 Depth=3
	global_load_ushort v27, v[14:15], off offset:12
	v_mul_lo_u32 v25, v12, 24
	v_mov_b32_e32 v45, 0
	s_mov_b64 s[24:25], 0
	ds_read2_b64 v[6:9], v25 offset0:128 offset1:129
	ds_read_b64 v[25:26], v25 offset:1040
	s_waitcnt vmcnt(0)
	v_and_b32_e32 v46, 0xffff, v27
	v_mov_b32_e32 v28, v1
	v_lshlrev_b32_e32 v47, 3, v46
	v_mov_b32_e32 v27, v0
.LBB0_37:                               ;   Parent Loop BB0_11 Depth=1
                                        ;     Parent Loop BB0_32 Depth=2
                                        ;       Parent Loop BB0_35 Depth=3
                                        ; =>      This Inner Loop Header: Depth=4
	v_add_u32_e32 v52, v30, v45
	ds_read2_b64 v[48:51], v52 offset1:4
	v_add_co_u32_e32 v27, vcc, v27, v46
	v_addc_co_u32_e32 v28, vcc, 0, v28, vcc
	s_waitcnt lgkmcnt(0)
	v_fma_f64 v[48:49], v[48:49], v[6:7], 0
	v_cmp_lt_u64_e32 vcc, 3, v[27:28]
	s_or_b64 s[24:25], vcc, s[24:25]
	v_fma_f64 v[48:49], v[50:51], v[8:9], v[48:49]
	ds_read_b64 v[50:51], v52 offset:64
	v_add_u32_e32 v52, v34, v45
	v_add_u32_e32 v45, v45, v47
	s_waitcnt lgkmcnt(0)
	v_fma_f64 v[48:49], v[50:51], v[25:26], v[48:49]
	ds_write_b64 v52, v[48:49]
	s_andn2_b64 exec, exec, s[24:25]
	s_cbranch_execnz .LBB0_37
	s_branch .LBB0_34
.LBB0_38:                               ;   in Loop: Header=BB0_11 Depth=1
	s_or_b64 exec, exec, s[6:7]
	s_waitcnt lgkmcnt(0)
	; wave barrier
	s_and_saveexec_b64 s[16:17], s[4:5]
	s_cbranch_execz .LBB0_47
; %bb.39:                               ;   in Loop: Header=BB0_11 Depth=1
	global_load_ushort v6, v[14:15], off offset:16
	v_mov_b32_e32 v10, v18
	v_mov_b32_e32 v13, v3
	s_mov_b64 s[18:19], 0
	v_add_u32_e32 v36, 0x200, v41
	v_mov_b32_e32 v11, v19
	v_mov_b32_e32 v12, v2
	s_waitcnt vmcnt(0)
	v_and_b32_e32 v45, 0xffff, v6
	v_lshlrev_b32_e32 v46, 7, v45
	s_branch .LBB0_41
.LBB0_40:                               ;   in Loop: Header=BB0_41 Depth=2
	s_or_b64 exec, exec, s[20:21]
	v_add_co_u32_e32 v12, vcc, v12, v45
	v_addc_co_u32_e32 v13, vcc, 0, v13, vcc
	v_cmp_lt_u64_e32 vcc, 3, v[12:13]
	v_add_co_u32_e64 v10, s[6:7], v10, v46
	v_addc_co_u32_e64 v11, s[6:7], 0, v11, s[6:7]
	s_or_b64 s[18:19], vcc, s[18:19]
	v_add_u32_e32 v36, v36, v46
	s_andn2_b64 exec, exec, s[18:19]
	s_cbranch_execz .LBB0_47
.LBB0_41:                               ;   Parent Loop BB0_11 Depth=1
                                        ; =>  This Loop Header: Depth=2
                                        ;       Child Loop BB0_44 Depth 3
                                        ;         Child Loop BB0_46 Depth 4
	s_and_saveexec_b64 s[20:21], s[10:11]
	s_cbranch_execz .LBB0_40
; %bb.42:                               ;   in Loop: Header=BB0_41 Depth=2
	global_load_ushort v6, v[14:15], off offset:14
	v_mad_u64_u32 v[25:26], s[6:7], v12, 24, v[22:23]
	v_mov_b32_e32 v27, v11
	v_mov_b32_e32 v29, v5
	s_mov_b64 s[22:23], 0
	v_mov_b32_e32 v47, v40
	v_mov_b32_e32 v48, v36
	;; [unrolled: 1-line block ×4, first 2 shown]
	s_waitcnt vmcnt(0)
	v_and_b32_e32 v49, 0xffff, v6
	v_lshlrev_b32_e32 v50, 5, v49
	s_branch .LBB0_44
.LBB0_43:                               ;   in Loop: Header=BB0_44 Depth=3
	s_or_b64 exec, exec, s[24:25]
	v_add_co_u32_e32 v28, vcc, v28, v49
	v_addc_co_u32_e32 v29, vcc, 0, v29, vcc
	v_add_co_u32_e32 v26, vcc, v26, v50
	v_addc_co_u32_e32 v27, vcc, 0, v27, vcc
	v_cmp_lt_u64_e32 vcc, 3, v[28:29]
	v_add_u32_e32 v48, v48, v50
	s_or_b64 s[22:23], vcc, s[22:23]
	v_add_u32_e32 v47, v47, v50
	s_andn2_b64 exec, exec, s[22:23]
	s_cbranch_execz .LBB0_40
.LBB0_44:                               ;   Parent Loop BB0_11 Depth=1
                                        ;     Parent Loop BB0_41 Depth=2
                                        ; =>    This Loop Header: Depth=3
                                        ;         Child Loop BB0_46 Depth 4
	s_and_saveexec_b64 s[24:25], s[8:9]
	s_cbranch_execz .LBB0_43
; %bb.45:                               ;   in Loop: Header=BB0_44 Depth=3
	global_load_ushort v34, v[14:15], off offset:12
	ds_read2_b64 v[6:9], v25 offset1:1
	ds_read_b64 v[30:31], v25 offset:16
	v_mov_b32_e32 v33, v27
	v_mov_b32_e32 v51, 0
	s_mov_b64 s[26:27], 0
	v_mov_b32_e32 v32, v26
	s_waitcnt vmcnt(0)
	v_and_b32_e32 v52, 0xffff, v34
	v_mov_b32_e32 v35, v1
	v_lshlrev_b32_e32 v53, 3, v52
	v_mov_b32_e32 v34, v0
.LBB0_46:                               ;   Parent Loop BB0_11 Depth=1
                                        ;     Parent Loop BB0_41 Depth=2
                                        ;       Parent Loop BB0_44 Depth=3
                                        ; =>      This Inner Loop Header: Depth=4
	global_load_dwordx2 v[58:59], v[32:33], off
	v_add_u32_e32 v60, v47, v51
	ds_read2_b64 v[54:57], v60 offset1:16
	v_add_co_u32_e64 v34, s[6:7], v34, v52
	v_addc_co_u32_e64 v35, s[6:7], 0, v35, s[6:7]
	s_waitcnt lgkmcnt(0)
	v_fma_f64 v[54:55], v[54:55], v[6:7], 0
	v_cmp_lt_u64_e64 s[6:7], 3, v[34:35]
	v_add_co_u32_e32 v32, vcc, v32, v53
	v_addc_co_u32_e32 v33, vcc, 0, v33, vcc
	s_or_b64 s[26:27], s[6:7], s[26:27]
	v_fma_f64 v[54:55], v[56:57], v[8:9], v[54:55]
	ds_read_b64 v[56:57], v60 offset:256
	s_waitcnt lgkmcnt(0)
	v_fma_f64 v[54:55], v[56:57], v[30:31], v[54:55]
	v_add_u32_e32 v56, v48, v51
	v_add_u32_e32 v51, v51, v53
	s_waitcnt vmcnt(0)
	v_mul_f64 v[54:55], v[54:55], v[58:59]
	ds_write_b64 v56, v[54:55]
	s_andn2_b64 exec, exec, s[26:27]
	s_cbranch_execnz .LBB0_46
	s_branch .LBB0_43
.LBB0_47:                               ;   in Loop: Header=BB0_11 Depth=1
	s_or_b64 exec, exec, s[16:17]
	s_waitcnt lgkmcnt(0)
	; wave barrier
	s_and_saveexec_b64 s[6:7], s[4:5]
	s_cbranch_execz .LBB0_56
; %bb.48:                               ;   in Loop: Header=BB0_11 Depth=1
	global_load_ushort v6, v[14:15], off offset:16
	v_mov_b32_e32 v26, v3
	s_mov_b64 s[16:17], 0
	v_mov_b32_e32 v31, v42
	v_mov_b32_e32 v25, v2
	s_waitcnt vmcnt(0)
	v_and_b32_e32 v32, 0xffff, v6
	v_mul_u32_u24_e32 v33, 0x60, v32
	s_branch .LBB0_50
.LBB0_49:                               ;   in Loop: Header=BB0_50 Depth=2
	s_or_b64 exec, exec, s[18:19]
	v_add_co_u32_e32 v25, vcc, v25, v32
	v_addc_co_u32_e32 v26, vcc, 0, v26, vcc
	v_cmp_lt_u64_e32 vcc, 3, v[25:26]
	v_add_u32_e32 v31, v31, v33
	s_or_b64 s[16:17], vcc, s[16:17]
	s_andn2_b64 exec, exec, s[16:17]
	s_cbranch_execz .LBB0_56
.LBB0_50:                               ;   Parent Loop BB0_11 Depth=1
                                        ; =>  This Loop Header: Depth=2
                                        ;       Child Loop BB0_53 Depth 3
                                        ;         Child Loop BB0_55 Depth 4
	s_and_saveexec_b64 s[18:19], s[10:11]
	s_cbranch_execz .LBB0_49
; %bb.51:                               ;   in Loop: Header=BB0_50 Depth=2
	global_load_ushort v6, v[14:15], off offset:14
	v_mov_b32_e32 v7, 0x200
	v_mov_b32_e32 v28, v5
	s_mov_b64 s[20:21], 0
	v_mov_b32_e32 v34, v31
	v_lshl_add_u32 v35, v25, 7, v7
	v_mov_b32_e32 v27, v4
	s_waitcnt vmcnt(0)
	v_and_b32_e32 v36, 0xffff, v6
	v_mul_u32_u24_e32 v45, 24, v36
	s_branch .LBB0_53
.LBB0_52:                               ;   in Loop: Header=BB0_53 Depth=3
	s_or_b64 exec, exec, s[22:23]
	v_add_co_u32_e32 v27, vcc, v27, v36
	v_addc_co_u32_e32 v28, vcc, 0, v28, vcc
	v_cmp_lt_u64_e32 vcc, 3, v[27:28]
	v_add_u32_e32 v34, v34, v45
	s_or_b64 s[20:21], vcc, s[20:21]
	s_andn2_b64 exec, exec, s[20:21]
	s_cbranch_execz .LBB0_49
.LBB0_53:                               ;   Parent Loop BB0_11 Depth=1
                                        ;     Parent Loop BB0_50 Depth=2
                                        ; =>    This Loop Header: Depth=3
                                        ;         Child Loop BB0_55 Depth 4
	s_and_saveexec_b64 s[22:23], s[12:13]
	s_cbranch_execz .LBB0_52
; %bb.54:                               ;   in Loop: Header=BB0_53 Depth=3
	global_load_ushort v29, v[14:15], off offset:12
	v_lshl_add_u32 v10, v27, 5, v35
	ds_read_b128 v[6:9], v10
	ds_read_b128 v[10:13], v10 offset:16
	s_mov_b64 s[24:25], 0
	v_lshl_add_u32 v47, v0, 5, v44
	v_mov_b32_e32 v46, v34
	s_waitcnt vmcnt(0)
	v_and_b32_e32 v48, 0xffff, v29
	v_mov_b32_e32 v30, v1
	v_lshlrev_b32_e32 v49, 3, v48
	v_lshlrev_b32_e32 v50, 5, v48
	v_mov_b32_e32 v29, v0
.LBB0_55:                               ;   Parent Loop BB0_11 Depth=1
                                        ;     Parent Loop BB0_50 Depth=2
                                        ;       Parent Loop BB0_53 Depth=3
                                        ; =>      This Inner Loop Header: Depth=4
	ds_read_b128 v[51:54], v47
	ds_read_b128 v[55:58], v47 offset:16
	v_add_co_u32_e32 v29, vcc, v29, v48
	v_addc_co_u32_e32 v30, vcc, 0, v30, vcc
	s_waitcnt lgkmcnt(1)
	v_fma_f64 v[51:52], v[6:7], v[51:52], 0
	v_cmp_lt_u64_e32 vcc, 2, v[29:30]
	v_add_u32_e32 v47, v47, v50
	s_or_b64 s[24:25], vcc, s[24:25]
	v_fma_f64 v[51:52], v[8:9], v[53:54], v[51:52]
	s_waitcnt lgkmcnt(0)
	v_fma_f64 v[51:52], v[10:11], v[55:56], v[51:52]
	v_fma_f64 v[51:52], v[12:13], v[57:58], v[51:52]
	ds_write_b64 v46, v[51:52]
	v_add_u32_e32 v46, v46, v49
	s_andn2_b64 exec, exec, s[24:25]
	s_cbranch_execnz .LBB0_55
	s_branch .LBB0_52
.LBB0_56:                               ;   in Loop: Header=BB0_11 Depth=1
	s_or_b64 exec, exec, s[6:7]
	s_waitcnt lgkmcnt(0)
	; wave barrier
	s_and_saveexec_b64 s[6:7], s[4:5]
	s_cbranch_execz .LBB0_65
; %bb.57:                               ;   in Loop: Header=BB0_11 Depth=1
	global_load_ushort v6, v[14:15], off offset:16
	v_mov_b32_e32 v26, v3
	s_mov_b64 s[16:17], 0
	v_mov_b32_e32 v31, v38
	v_add_u32_e32 v32, 0x200, v37
	v_mov_b32_e32 v25, v2
	s_waitcnt vmcnt(0)
	v_and_b32_e32 v33, 0xffff, v6
	v_mul_u32_u24_e32 v34, 0x48, v33
	v_mul_u32_u24_e32 v35, 0x60, v33
	s_branch .LBB0_59
.LBB0_58:                               ;   in Loop: Header=BB0_59 Depth=2
	s_or_b64 exec, exec, s[18:19]
	v_add_co_u32_e32 v25, vcc, v25, v33
	v_addc_co_u32_e32 v26, vcc, 0, v26, vcc
	v_cmp_lt_u64_e32 vcc, 3, v[25:26]
	v_add_u32_e32 v32, v32, v34
	s_or_b64 s[16:17], vcc, s[16:17]
	v_add_u32_e32 v31, v31, v35
	s_andn2_b64 exec, exec, s[16:17]
	s_cbranch_execz .LBB0_65
.LBB0_59:                               ;   Parent Loop BB0_11 Depth=1
                                        ; =>  This Loop Header: Depth=2
                                        ;       Child Loop BB0_62 Depth 3
                                        ;         Child Loop BB0_64 Depth 4
	s_and_saveexec_b64 s[18:19], s[0:1]
	s_cbranch_execz .LBB0_58
; %bb.60:                               ;   in Loop: Header=BB0_59 Depth=2
	global_load_ushort v6, v[14:15], off offset:14
	v_mov_b32_e32 v28, v5
	s_mov_b64 s[20:21], 0
	v_mov_b32_e32 v36, v32
	v_mov_b32_e32 v27, v4
	s_waitcnt vmcnt(0)
	v_and_b32_e32 v45, 0xffff, v6
	v_mul_u32_u24_e32 v46, 24, v45
	s_branch .LBB0_62
.LBB0_61:                               ;   in Loop: Header=BB0_62 Depth=3
	s_or_b64 exec, exec, s[22:23]
	v_add_co_u32_e32 v27, vcc, v27, v45
	v_addc_co_u32_e32 v28, vcc, 0, v28, vcc
	v_cmp_lt_u64_e32 vcc, 2, v[27:28]
	v_add_u32_e32 v36, v36, v46
	s_or_b64 s[20:21], vcc, s[20:21]
	s_andn2_b64 exec, exec, s[20:21]
	s_cbranch_execz .LBB0_58
.LBB0_62:                               ;   Parent Loop BB0_11 Depth=1
                                        ;     Parent Loop BB0_59 Depth=2
                                        ; =>    This Loop Header: Depth=3
                                        ;         Child Loop BB0_64 Depth 4
	s_and_saveexec_b64 s[22:23], s[12:13]
	s_cbranch_execz .LBB0_61
; %bb.63:                               ;   in Loop: Header=BB0_62 Depth=3
	global_load_ushort v29, v[14:15], off offset:12
	v_lshlrev_b32_e32 v10, 5, v27
	ds_read_b128 v[6:9], v10 offset:1120
	ds_read_b128 v[10:13], v10 offset:1136
	v_mov_b32_e32 v47, 0
	s_mov_b64 s[24:25], 0
	s_waitcnt vmcnt(0)
	v_and_b32_e32 v48, 0xffff, v29
	v_mov_b32_e32 v30, v1
	v_lshlrev_b32_e32 v49, 3, v48
	v_mov_b32_e32 v29, v0
.LBB0_64:                               ;   Parent Loop BB0_11 Depth=1
                                        ;     Parent Loop BB0_59 Depth=2
                                        ;       Parent Loop BB0_62 Depth=3
                                        ; =>      This Inner Loop Header: Depth=4
	v_add_u32_e32 v56, v31, v47
	ds_read2_b64 v[50:53], v56 offset1:3
	v_add_co_u32_e32 v29, vcc, v29, v48
	v_addc_co_u32_e32 v30, vcc, 0, v30, vcc
	s_waitcnt lgkmcnt(0)
	v_fma_f64 v[50:51], v[50:51], v[6:7], 0
	v_cmp_lt_u64_e32 vcc, 2, v[29:30]
	s_or_b64 s[24:25], vcc, s[24:25]
	v_fma_f64 v[54:55], v[52:53], v[8:9], v[50:51]
	ds_read2_b64 v[50:53], v56 offset0:6 offset1:9
	s_waitcnt lgkmcnt(0)
	v_fma_f64 v[50:51], v[50:51], v[10:11], v[54:55]
	v_add_u32_e32 v54, v36, v47
	v_add_u32_e32 v47, v47, v49
	v_fma_f64 v[50:51], v[52:53], v[12:13], v[50:51]
	ds_write_b64 v54, v[50:51]
	s_andn2_b64 exec, exec, s[24:25]
	s_cbranch_execnz .LBB0_64
	s_branch .LBB0_61
.LBB0_65:                               ;   in Loop: Header=BB0_11 Depth=1
	s_or_b64 exec, exec, s[6:7]
	s_waitcnt lgkmcnt(0)
	; wave barrier
	s_and_saveexec_b64 s[16:17], s[2:3]
	s_cbranch_execz .LBB0_10
; %bb.66:                               ;   in Loop: Header=BB0_11 Depth=1
	global_load_ushort v6, v[14:15], off offset:16
	v_mov_b32_e32 v26, v21
	v_mov_b32_e32 v28, v3
	s_mov_b64 s[18:19], 0
	v_mov_b32_e32 v25, v20
	v_mov_b32_e32 v27, v2
	s_waitcnt vmcnt(0)
	v_and_b32_e32 v45, 0xffff, v6
	v_mul_hi_u32_u24_e32 v46, 0x48, v45
	v_mul_u32_u24_e32 v47, 0x48, v45
	s_branch .LBB0_68
.LBB0_67:                               ;   in Loop: Header=BB0_68 Depth=2
	s_or_b64 exec, exec, s[20:21]
	v_add_co_u32_e32 v27, vcc, v27, v45
	v_addc_co_u32_e32 v28, vcc, 0, v28, vcc
	v_cmp_lt_u64_e32 vcc, 2, v[27:28]
	s_or_b64 s[18:19], vcc, s[18:19]
	v_add_co_u32_e32 v25, vcc, v25, v47
	v_addc_co_u32_e32 v26, vcc, v26, v46, vcc
	s_andn2_b64 exec, exec, s[18:19]
	s_cbranch_execz .LBB0_10
.LBB0_68:                               ;   Parent Loop BB0_11 Depth=1
                                        ; =>  This Loop Header: Depth=2
                                        ;       Child Loop BB0_71 Depth 3
                                        ;         Child Loop BB0_73 Depth 4
	s_and_saveexec_b64 s[20:21], s[0:1]
	s_cbranch_execz .LBB0_67
; %bb.69:                               ;   in Loop: Header=BB0_68 Depth=2
	global_load_ushort v6, v[14:15], off offset:14
	v_mov_b32_e32 v30, v26
	v_mov_b32_e32 v32, v5
	v_lshl_add_u32 v48, v27, 5, v44
	s_mov_b64 s[22:23], 0
	v_mov_b32_e32 v49, v43
	v_mov_b32_e32 v29, v25
	;; [unrolled: 1-line block ×3, first 2 shown]
	s_waitcnt vmcnt(0)
	v_and_b32_e32 v50, 0xffff, v6
	v_mul_hi_u32_u24_e32 v51, 24, v50
	v_mul_u32_u24_e32 v52, 24, v50
	s_branch .LBB0_71
.LBB0_70:                               ;   in Loop: Header=BB0_71 Depth=3
	s_or_b64 exec, exec, s[6:7]
	v_add_co_u32_e32 v31, vcc, v31, v50
	v_addc_co_u32_e32 v32, vcc, 0, v32, vcc
	v_cmp_lt_u64_e32 vcc, 2, v[31:32]
	v_add_co_u32_e64 v29, s[6:7], v29, v52
	v_addc_co_u32_e64 v30, s[6:7], v30, v51, s[6:7]
	s_or_b64 s[22:23], vcc, s[22:23]
	v_add_u32_e32 v49, v49, v52
	s_andn2_b64 exec, exec, s[22:23]
	s_cbranch_execz .LBB0_67
.LBB0_71:                               ;   Parent Loop BB0_11 Depth=1
                                        ;     Parent Loop BB0_68 Depth=2
                                        ; =>    This Loop Header: Depth=3
                                        ;         Child Loop BB0_73 Depth 4
	s_and_saveexec_b64 s[6:7], s[12:13]
	s_cbranch_execz .LBB0_70
; %bb.72:                               ;   in Loop: Header=BB0_71 Depth=3
	global_load_ushort v35, v[14:15], off offset:12
	ds_read_b128 v[6:9], v48
	ds_read_b128 v[10:13], v48 offset:16
	v_mov_b32_e32 v34, v30
	s_mov_b64 s[24:25], 0
	v_mov_b32_e32 v53, v49
	v_mov_b32_e32 v33, v29
	s_waitcnt vmcnt(0)
	v_and_b32_e32 v54, 0xffff, v35
	v_mov_b32_e32 v36, v1
	v_lshlrev_b32_e32 v55, 3, v54
	v_mov_b32_e32 v35, v0
.LBB0_73:                               ;   Parent Loop BB0_11 Depth=1
                                        ;     Parent Loop BB0_68 Depth=2
                                        ;       Parent Loop BB0_71 Depth=3
                                        ; =>      This Inner Loop Header: Depth=4
	ds_read2_b64 v[56:59], v53 offset1:9
	v_add_co_u32_e32 v35, vcc, v35, v54
	v_addc_co_u32_e32 v36, vcc, 0, v36, vcc
	s_waitcnt lgkmcnt(0)
	v_fma_f64 v[56:57], v[56:57], v[6:7], 0
	v_cmp_lt_u64_e32 vcc, 2, v[35:36]
	s_or_b64 s[24:25], vcc, s[24:25]
	v_fma_f64 v[60:61], v[58:59], v[8:9], v[56:57]
	ds_read2_b64 v[56:59], v53 offset0:18 offset1:27
	v_add_u32_e32 v53, v53, v55
	s_waitcnt lgkmcnt(0)
	v_fma_f64 v[56:57], v[56:57], v[10:11], v[60:61]
	v_fma_f64 v[56:57], v[58:59], v[12:13], v[56:57]
	global_store_dwordx2 v[33:34], v[56:57], off
	v_add_co_u32_e32 v33, vcc, v33, v55
	v_addc_co_u32_e32 v34, vcc, 0, v34, vcc
	s_andn2_b64 exec, exec, s[24:25]
	s_cbranch_execnz .LBB0_73
	s_branch .LBB0_70
.LBB0_74:
	s_endpgm
	.section	.rodata,"a",@progbits
	.p2align	6, 0x0
	.amdhsa_kernel _ZN8rajaperf4apps15MassVec3DPALoopILm64EEEvPdS2_S2_S2_
		.amdhsa_group_segment_fixed_size 1216
		.amdhsa_private_segment_fixed_size 0
		.amdhsa_kernarg_size 288
		.amdhsa_user_sgpr_count 6
		.amdhsa_user_sgpr_private_segment_buffer 1
		.amdhsa_user_sgpr_dispatch_ptr 0
		.amdhsa_user_sgpr_queue_ptr 0
		.amdhsa_user_sgpr_kernarg_segment_ptr 1
		.amdhsa_user_sgpr_dispatch_id 0
		.amdhsa_user_sgpr_flat_scratch_init 0
		.amdhsa_user_sgpr_private_segment_size 0
		.amdhsa_uses_dynamic_stack 0
		.amdhsa_system_sgpr_private_segment_wavefront_offset 0
		.amdhsa_system_sgpr_workgroup_id_x 1
		.amdhsa_system_sgpr_workgroup_id_y 0
		.amdhsa_system_sgpr_workgroup_id_z 0
		.amdhsa_system_sgpr_workgroup_info 0
		.amdhsa_system_vgpr_workitem_id 2
		.amdhsa_next_free_vgpr 62
		.amdhsa_next_free_sgpr 29
		.amdhsa_reserve_vcc 1
		.amdhsa_reserve_flat_scratch 0
		.amdhsa_float_round_mode_32 0
		.amdhsa_float_round_mode_16_64 0
		.amdhsa_float_denorm_mode_32 3
		.amdhsa_float_denorm_mode_16_64 3
		.amdhsa_dx10_clamp 1
		.amdhsa_ieee_mode 1
		.amdhsa_fp16_overflow 0
		.amdhsa_exception_fp_ieee_invalid_op 0
		.amdhsa_exception_fp_denorm_src 0
		.amdhsa_exception_fp_ieee_div_zero 0
		.amdhsa_exception_fp_ieee_overflow 0
		.amdhsa_exception_fp_ieee_underflow 0
		.amdhsa_exception_fp_ieee_inexact 0
		.amdhsa_exception_int_div_zero 0
	.end_amdhsa_kernel
	.section	.text._ZN8rajaperf4apps15MassVec3DPALoopILm64EEEvPdS2_S2_S2_,"axG",@progbits,_ZN8rajaperf4apps15MassVec3DPALoopILm64EEEvPdS2_S2_S2_,comdat
.Lfunc_end0:
	.size	_ZN8rajaperf4apps15MassVec3DPALoopILm64EEEvPdS2_S2_S2_, .Lfunc_end0-_ZN8rajaperf4apps15MassVec3DPALoopILm64EEEvPdS2_S2_S2_
                                        ; -- End function
	.set _ZN8rajaperf4apps15MassVec3DPALoopILm64EEEvPdS2_S2_S2_.num_vgpr, 62
	.set _ZN8rajaperf4apps15MassVec3DPALoopILm64EEEvPdS2_S2_S2_.num_agpr, 0
	.set _ZN8rajaperf4apps15MassVec3DPALoopILm64EEEvPdS2_S2_S2_.numbered_sgpr, 29
	.set _ZN8rajaperf4apps15MassVec3DPALoopILm64EEEvPdS2_S2_S2_.num_named_barrier, 0
	.set _ZN8rajaperf4apps15MassVec3DPALoopILm64EEEvPdS2_S2_S2_.private_seg_size, 0
	.set _ZN8rajaperf4apps15MassVec3DPALoopILm64EEEvPdS2_S2_S2_.uses_vcc, 1
	.set _ZN8rajaperf4apps15MassVec3DPALoopILm64EEEvPdS2_S2_S2_.uses_flat_scratch, 0
	.set _ZN8rajaperf4apps15MassVec3DPALoopILm64EEEvPdS2_S2_S2_.has_dyn_sized_stack, 0
	.set _ZN8rajaperf4apps15MassVec3DPALoopILm64EEEvPdS2_S2_S2_.has_recursion, 0
	.set _ZN8rajaperf4apps15MassVec3DPALoopILm64EEEvPdS2_S2_S2_.has_indirect_call, 0
	.section	.AMDGPU.csdata,"",@progbits
; Kernel info:
; codeLenInByte = 3480
; TotalNumSgprs: 33
; NumVgprs: 62
; ScratchSize: 0
; MemoryBound: 0
; FloatMode: 240
; IeeeMode: 1
; LDSByteSize: 1216 bytes/workgroup (compile time only)
; SGPRBlocks: 4
; VGPRBlocks: 15
; NumSGPRsForWavesPerEU: 33
; NumVGPRsForWavesPerEU: 62
; Occupancy: 4
; WaveLimiterHint : 0
; COMPUTE_PGM_RSRC2:SCRATCH_EN: 0
; COMPUTE_PGM_RSRC2:USER_SGPR: 6
; COMPUTE_PGM_RSRC2:TRAP_HANDLER: 0
; COMPUTE_PGM_RSRC2:TGID_X_EN: 1
; COMPUTE_PGM_RSRC2:TGID_Y_EN: 0
; COMPUTE_PGM_RSRC2:TGID_Z_EN: 0
; COMPUTE_PGM_RSRC2:TIDIG_COMP_CNT: 2
	.section	.text._ZN4RAJA34launch_new_reduce_global_fcn_fixedIZN8rajaperf4apps11MASSVEC3DPA17runHipVariantImplILm64ELm0EEEvNS1_9VariantIDEEUlNS_14LaunchContextTINS_3hip33LaunchContextIndicesAndDimsPolicyINS7_14IndicesAndDimsILb0ELb0ELb0ELb0EEEEEEEE_Li64ENS_4expt15ForallParamPackIJEEEEEvT_T1_,"axG",@progbits,_ZN4RAJA34launch_new_reduce_global_fcn_fixedIZN8rajaperf4apps11MASSVEC3DPA17runHipVariantImplILm64ELm0EEEvNS1_9VariantIDEEUlNS_14LaunchContextTINS_3hip33LaunchContextIndicesAndDimsPolicyINS7_14IndicesAndDimsILb0ELb0ELb0ELb0EEEEEEEE_Li64ENS_4expt15ForallParamPackIJEEEEEvT_T1_,comdat
	.protected	_ZN4RAJA34launch_new_reduce_global_fcn_fixedIZN8rajaperf4apps11MASSVEC3DPA17runHipVariantImplILm64ELm0EEEvNS1_9VariantIDEEUlNS_14LaunchContextTINS_3hip33LaunchContextIndicesAndDimsPolicyINS7_14IndicesAndDimsILb0ELb0ELb0ELb0EEEEEEEE_Li64ENS_4expt15ForallParamPackIJEEEEEvT_T1_ ; -- Begin function _ZN4RAJA34launch_new_reduce_global_fcn_fixedIZN8rajaperf4apps11MASSVEC3DPA17runHipVariantImplILm64ELm0EEEvNS1_9VariantIDEEUlNS_14LaunchContextTINS_3hip33LaunchContextIndicesAndDimsPolicyINS7_14IndicesAndDimsILb0ELb0ELb0ELb0EEEEEEEE_Li64ENS_4expt15ForallParamPackIJEEEEEvT_T1_
	.globl	_ZN4RAJA34launch_new_reduce_global_fcn_fixedIZN8rajaperf4apps11MASSVEC3DPA17runHipVariantImplILm64ELm0EEEvNS1_9VariantIDEEUlNS_14LaunchContextTINS_3hip33LaunchContextIndicesAndDimsPolicyINS7_14IndicesAndDimsILb0ELb0ELb0ELb0EEEEEEEE_Li64ENS_4expt15ForallParamPackIJEEEEEvT_T1_
	.p2align	8
	.type	_ZN4RAJA34launch_new_reduce_global_fcn_fixedIZN8rajaperf4apps11MASSVEC3DPA17runHipVariantImplILm64ELm0EEEvNS1_9VariantIDEEUlNS_14LaunchContextTINS_3hip33LaunchContextIndicesAndDimsPolicyINS7_14IndicesAndDimsILb0ELb0ELb0ELb0EEEEEEEE_Li64ENS_4expt15ForallParamPackIJEEEEEvT_T1_,@function
_ZN4RAJA34launch_new_reduce_global_fcn_fixedIZN8rajaperf4apps11MASSVEC3DPA17runHipVariantImplILm64ELm0EEEvNS1_9VariantIDEEUlNS_14LaunchContextTINS_3hip33LaunchContextIndicesAndDimsPolicyINS7_14IndicesAndDimsILb0ELb0ELb0ELb0EEEEEEEE_Li64ENS_4expt15ForallParamPackIJEEEEEvT_T1_: ; @_ZN4RAJA34launch_new_reduce_global_fcn_fixedIZN8rajaperf4apps11MASSVEC3DPA17runHipVariantImplILm64ELm0EEEvNS1_9VariantIDEEUlNS_14LaunchContextTINS_3hip33LaunchContextIndicesAndDimsPolicyINS7_14IndicesAndDimsILb0ELb0ELb0ELb0EEEEEEEE_Li64ENS_4expt15ForallParamPackIJEEEEEvT_T1_
; %bb.0:
	s_load_dwordx8 s[16:23], s[4:5], 0x0
	s_mov_b32 s14, s7
	s_mov_b32 s7, 0
	v_mov_b32_e32 v5, s6
	v_mov_b32_e32 v6, s7
	s_waitcnt lgkmcnt(0)
	v_cmp_le_i64_e32 vcc, s[16:17], v[5:6]
	s_cbranch_vccnz .LBB1_77
; %bb.1:
	s_load_dword s0, s[4:5], 0x40
	s_load_dwordx2 s[16:17], s[4:5], 0x20
	v_mov_b32_e32 v4, v1
	s_add_u32 s24, s4, 48
	v_cmp_ne_u32_e32 vcc, 0, v2
	s_addc_u32 s25, s5, 0
	s_waitcnt lgkmcnt(0)
	s_and_b32 s15, s0, 0xffff
	v_lshlrev_b32_e32 v20, 3, v0
	v_lshlrev_b32_e32 v21, 5, v4
	s_and_saveexec_b64 s[0:1], vcc
	s_xor_b64 s[0:1], exec, s[0:1]
                                        ; implicit-def: $vgpr22
                                        ; implicit-def: $vgpr23
; %bb.2:
	v_mov_b32_e32 v5, 0
	v_mov_b32_e32 v1, v5
	v_mov_b32_e32 v22, v5
	v_mov_b32_e32 v23, v5
; %bb.3:
	s_andn2_saveexec_b64 s[4:5], s[0:1]
	s_cbranch_execz .LBB1_12
; %bb.4:
	s_load_dword s8, s[24:25], 0xc
	v_add_co_u32_e32 v3, vcc, v21, v20
	v_addc_co_u32_e64 v7, s[10:11], 0, 0, vcc
	s_waitcnt lgkmcnt(0)
	s_lshr_b32 s28, s8, 16
	v_mov_b32_e32 v8, s19
	v_add_co_u32_e32 v6, vcc, s18, v3
	s_movk_i32 s10, 0x460
	v_mov_b32_e32 v5, 0
	s_cmp_lg_u32 s15, 0
	v_addc_co_u32_e32 v7, vcc, v8, v7, vcc
	v_add3_u32 v3, v21, v20, s10
	v_mul_u32_u24_e32 v8, 24, v0
	v_lshlrev_b32_e32 v9, 3, v4
	s_movk_i32 s10, 0x400
	v_cmp_gt_u32_e64 s[0:1], 3, v4
	v_cmp_gt_u32_e64 s[2:3], 4, v0
	v_mov_b32_e32 v1, v5
	s_cselect_b64 s[8:9], -1, 0
	v_mov_b32_e32 v23, v5
	v_mov_b32_e32 v22, v5
	s_lshl_b32 s29, s28, 5
	v_add3_u32 v16, v8, v9, s10
	s_lshl_b32 s30, s28, 3
	s_branch .LBB1_6
.LBB1_5:                                ;   in Loop: Header=BB1_6 Depth=1
	s_or_b64 exec, exec, s[10:11]
	s_andn2_b64 vcc, exec, s[8:9]
	s_cbranch_vccz .LBB1_12
.LBB1_6:                                ; =>This Loop Header: Depth=1
                                        ;     Child Loop BB1_9 Depth 2
                                        ;       Child Loop BB1_11 Depth 3
	s_and_saveexec_b64 s[10:11], s[0:1]
	s_cbranch_execz .LBB1_5
; %bb.7:                                ;   in Loop: Header=BB1_6 Depth=1
	s_load_dword s12, s[24:25], 0x0
	v_mov_b32_e32 v11, v5
	v_mov_b32_e32 v24, v16
	v_mov_b32_e32 v25, v3
	v_mov_b32_e32 v10, v4
	s_waitcnt lgkmcnt(0)
	s_cmp_lt_u32 s6, s12
	s_cselect_b32 s12, 12, 18
	s_add_u32 s12, s24, s12
	s_addc_u32 s13, s25, 0
	global_load_ushort v8, v5, s[12:13]
	s_mov_b64 s[12:13], 0
	s_waitcnt vmcnt(0)
	v_and_b32_e32 v17, 0xffff, v8
	v_mul_lo_u32 v19, v17, 24
	v_mov_b32_e32 v9, v7
	v_lshlrev_b32_e32 v18, 3, v17
	v_mov_b32_e32 v8, v6
	s_branch .LBB1_9
.LBB1_8:                                ;   in Loop: Header=BB1_9 Depth=2
	s_or_b64 exec, exec, s[18:19]
	v_add_co_u32_e32 v10, vcc, s28, v10
	v_addc_co_u32_e32 v11, vcc, 0, v11, vcc
	v_add_co_u32_e32 v8, vcc, s29, v8
	v_addc_co_u32_e32 v9, vcc, 0, v9, vcc
	v_cmp_lt_u64_e32 vcc, 2, v[10:11]
	v_add_u32_e32 v25, s29, v25
	s_or_b64 s[12:13], vcc, s[12:13]
	v_add_u32_e32 v24, s30, v24
	s_andn2_b64 exec, exec, s[12:13]
	s_cbranch_execz .LBB1_5
.LBB1_9:                                ;   Parent Loop BB1_6 Depth=1
                                        ; =>  This Loop Header: Depth=2
                                        ;       Child Loop BB1_11 Depth 3
	s_and_saveexec_b64 s[18:19], s[2:3]
	s_cbranch_execz .LBB1_8
; %bb.10:                               ;   in Loop: Header=BB1_9 Depth=2
	v_mov_b32_e32 v13, v9
	v_mov_b32_e32 v15, v1
	s_mov_b64 s[26:27], 0
	v_mov_b32_e32 v26, v24
	v_mov_b32_e32 v27, v25
	;; [unrolled: 1-line block ×4, first 2 shown]
.LBB1_11:                               ;   Parent Loop BB1_6 Depth=1
                                        ;     Parent Loop BB1_9 Depth=2
                                        ; =>    This Inner Loop Header: Depth=3
	global_load_dwordx2 v[28:29], v[12:13], off
	v_add_co_u32_e32 v14, vcc, v14, v17
	v_addc_co_u32_e32 v15, vcc, 0, v15, vcc
	v_add_co_u32_e32 v12, vcc, v12, v18
	v_addc_co_u32_e32 v13, vcc, 0, v13, vcc
	v_cmp_lt_u64_e32 vcc, 3, v[14:15]
	s_waitcnt vmcnt(0)
	ds_write_b64 v26, v[28:29]
	ds_write_b64 v27, v[28:29]
	s_or_b64 s[26:27], vcc, s[26:27]
	v_add_u32_e32 v27, v27, v18
	v_add_u32_e32 v26, v26, v19
	s_andn2_b64 exec, exec, s[26:27]
	s_cbranch_execnz .LBB1_11
	s_branch .LBB1_8
.LBB1_12:
	s_or_b64 exec, exec, s[4:5]
	v_mul_hi_u32_u24_e32 v7, 0x48, v2
	v_mul_u32_u24_e32 v6, 0x48, v2
	v_mov_b32_e32 v8, 0x288
	v_mad_u64_u32 v[6:7], s[8:9], s6, v8, v[6:7]
	v_mul_lo_u32 v9, v4, 24
	s_lshl_b64 s[18:19], s[6:7], 9
	v_mad_u64_u32 v[6:7], s[12:13], v4, 24, v[6:7]
	v_lshlrev_b32_e32 v11, 5, v4
	v_lshlrev_b32_e32 v12, 7, v2
	v_mad_u64_u32 v[7:8], s[26:27], v5, 24, v[7:8]
	v_add_co_u32_e32 v6, vcc, v6, v20
	v_addc_co_u32_e32 v7, vcc, v7, v22, vcc
	v_mov_b32_e32 v8, s21
	v_add_co_u32_e32 v14, vcc, s20, v6
	v_addc_co_u32_e32 v15, vcc, v8, v7, vcc
	v_lshlrev_b32_e32 v8, 3, v0
	s_movk_i32 s20, 0x60
	v_mad_u32_u24 v36, v2, s20, v8
	s_movk_i32 s20, 0x200
	v_add_u32_e32 v10, v9, v8
	v_add3_u32 v37, v36, v11, s20
	v_add_u32_e32 v38, v11, v8
	v_mov_b32_e32 v8, s19
	v_add_co_u32_e32 v11, vcc, s18, v12
	v_addc_co_u32_e32 v8, vcc, 0, v8, vcc
	v_add_co_u32_e32 v11, vcc, v11, v21
	v_mov_b32_e32 v16, 0x400
	v_addc_co_u32_e32 v8, vcc, v8, v23, vcc
	v_mov_b32_e32 v17, 0
	v_add_co_u32_e32 v11, vcc, v11, v20
	v_mad_u64_u32 v[18:19], s[20:21], v0, 24, v[16:17]
	v_addc_co_u32_e32 v8, vcc, v8, v22, vcc
	v_add_u32_e32 v39, v38, v12
	v_mov_b32_e32 v12, s23
	v_add_co_u32_e32 v19, vcc, s22, v11
	s_movk_i32 s7, 0x48
	v_addc_co_u32_e32 v20, vcc, v12, v8, vcc
	v_mad_u32_u24 v35, v2, s7, v10
	v_mov_b32_e32 v43, 0x460
	v_mov_b32_e32 v8, s17
	v_add_co_u32_e32 v21, vcc, s16, v6
	v_mov_b32_e32 v3, 0
	v_cmp_gt_u32_e64 s[0:1], 3, v2
	v_cmp_gt_u32_e64 s[2:3], 4, v2
	;; [unrolled: 1-line block ×6, first 2 shown]
	s_mul_i32 s33, s15, 0x48
	s_mul_i32 s36, s15, 0x60
	s_lshl_b32 s37, s15, 7
	v_add_u32_e32 v40, 0x200, v36
	v_add_u32_e32 v41, 0x200, v39
	;; [unrolled: 1-line block ×3, first 2 shown]
	v_addc_co_u32_e32 v22, vcc, v8, v7, vcc
	v_lshl_add_u32 v44, v0, 5, v43
	v_add_u32_e32 v45, 0x200, v35
	v_add_u32_e32 v46, 0x200, v10
	s_mov_b64 s[18:19], 0
	v_mov_b32_e32 v47, 0x200
	s_branch .LBB1_14
.LBB1_13:                               ;   in Loop: Header=BB1_14 Depth=1
	s_or_b64 exec, exec, s[20:21]
	v_add_co_u32_e32 v14, vcc, 0xd8, v14
	s_add_u32 s18, s18, 1
	v_addc_co_u32_e32 v15, vcc, 0, v15, vcc
	s_addc_u32 s19, s19, 0
	v_add_co_u32_e32 v21, vcc, 0xd8, v21
	s_cmp_lg_u64 s[18:19], 3
	v_addc_co_u32_e32 v22, vcc, 0, v22, vcc
	; wave barrier
	s_cbranch_scc0 .LBB1_77
.LBB1_14:                               ; =>This Loop Header: Depth=1
                                        ;     Child Loop BB1_17 Depth 2
                                        ;       Child Loop BB1_20 Depth 3
                                        ;         Child Loop BB1_22 Depth 4
                                        ;     Child Loop BB1_26 Depth 2
                                        ;       Child Loop BB1_29 Depth 3
                                        ;         Child Loop BB1_31 Depth 4
	;; [unrolled: 3-line block ×7, first 2 shown]
	s_and_saveexec_b64 s[20:21], s[0:1]
	s_cbranch_execz .LBB1_23
; %bb.15:                               ;   in Loop: Header=BB1_14 Depth=1
	s_load_dword s16, s[24:25], 0x4
	v_mov_b32_e32 v9, v3
	s_mov_b64 s[22:23], 0
	v_mov_b32_e32 v29, v35
	v_mov_b32_e32 v8, v2
	s_waitcnt lgkmcnt(0)
	s_cmp_lt_u32 s14, s16
	s_cselect_b32 s16, 14, 20
	s_add_u32 s16, s24, s16
	s_addc_u32 s17, s25, 0
	global_load_ushort v6, v3, s[16:17]
	s_waitcnt vmcnt(0)
	v_and_b32_e32 v27, 0xffff, v6
	v_mul_lo_u32 v28, v27, 24
	v_mov_b32_e32 v6, v14
	v_mov_b32_e32 v7, v15
	s_branch .LBB1_17
.LBB1_16:                               ;   in Loop: Header=BB1_17 Depth=2
	s_or_b64 exec, exec, s[26:27]
	v_add_co_u32_e32 v8, vcc, s15, v8
	v_addc_co_u32_e32 v9, vcc, 0, v9, vcc
	v_cmp_lt_u64_e32 vcc, 2, v[8:9]
	v_add_co_u32_e64 v6, s[16:17], s33, v6
	v_addc_co_u32_e64 v7, s[16:17], 0, v7, s[16:17]
	s_or_b64 s[22:23], vcc, s[22:23]
	v_add_u32_e32 v29, s33, v29
	s_andn2_b64 exec, exec, s[22:23]
	s_cbranch_execz .LBB1_23
.LBB1_17:                               ;   Parent Loop BB1_14 Depth=1
                                        ; =>  This Loop Header: Depth=2
                                        ;       Child Loop BB1_20 Depth 3
                                        ;         Child Loop BB1_22 Depth 4
	s_and_saveexec_b64 s[26:27], s[4:5]
	s_cbranch_execz .LBB1_16
; %bb.18:                               ;   in Loop: Header=BB1_17 Depth=2
	s_load_dword s16, s[24:25], 0x0
	v_mov_b32_e32 v11, v7
	s_mov_b64 s[28:29], 0
	v_mov_b32_e32 v30, v29
	v_mov_b32_e32 v10, v6
	s_waitcnt lgkmcnt(0)
	s_cmp_lt_u32 s6, s16
	s_cselect_b32 s16, 12, 18
	s_add_u32 s16, s24, s16
	s_addc_u32 s17, s25, 0
	global_load_ushort v12, v3, s[16:17]
	s_waitcnt vmcnt(0)
	v_and_b32_e32 v31, 0xffff, v12
	v_mov_b32_e32 v13, v5
	v_lshlrev_b32_e32 v32, 3, v31
	v_mov_b32_e32 v12, v4
	s_branch .LBB1_20
.LBB1_19:                               ;   in Loop: Header=BB1_20 Depth=3
	s_or_b64 exec, exec, s[30:31]
	v_add_co_u32_e32 v12, vcc, v12, v27
	v_addc_co_u32_e32 v13, vcc, 0, v13, vcc
	v_cmp_lt_u64_e32 vcc, 2, v[12:13]
	v_add_co_u32_e64 v10, s[16:17], v10, v28
	v_addc_co_u32_e64 v11, s[16:17], 0, v11, s[16:17]
	s_or_b64 s[28:29], vcc, s[28:29]
	v_add_u32_e32 v30, v30, v28
	s_andn2_b64 exec, exec, s[28:29]
	s_cbranch_execz .LBB1_16
.LBB1_20:                               ;   Parent Loop BB1_14 Depth=1
                                        ;     Parent Loop BB1_17 Depth=2
                                        ; =>    This Loop Header: Depth=3
                                        ;         Child Loop BB1_22 Depth 4
	s_and_saveexec_b64 s[30:31], s[8:9]
	s_cbranch_execz .LBB1_19
; %bb.21:                               ;   in Loop: Header=BB1_20 Depth=3
	v_mov_b32_e32 v24, v11
	v_mov_b32_e32 v26, v1
	s_mov_b64 s[34:35], 0
	v_mov_b32_e32 v33, v30
	v_mov_b32_e32 v23, v10
	;; [unrolled: 1-line block ×3, first 2 shown]
.LBB1_22:                               ;   Parent Loop BB1_14 Depth=1
                                        ;     Parent Loop BB1_17 Depth=2
                                        ;       Parent Loop BB1_20 Depth=3
                                        ; =>      This Inner Loop Header: Depth=4
	global_load_dwordx2 v[48:49], v[23:24], off
	v_add_co_u32_e32 v25, vcc, v25, v31
	v_add_co_u32_e64 v23, s[16:17], v23, v32
	v_addc_co_u32_e32 v26, vcc, 0, v26, vcc
	v_addc_co_u32_e64 v24, vcc, 0, v24, s[16:17]
	v_cmp_lt_u64_e32 vcc, 2, v[25:26]
	s_or_b64 s[34:35], vcc, s[34:35]
	s_waitcnt vmcnt(0)
	ds_write_b64 v33, v[48:49]
	v_add_u32_e32 v33, v33, v32
	s_andn2_b64 exec, exec, s[34:35]
	s_cbranch_execnz .LBB1_22
	s_branch .LBB1_19
.LBB1_23:                               ;   in Loop: Header=BB1_14 Depth=1
	s_or_b64 exec, exec, s[20:21]
	s_waitcnt lgkmcnt(0)
	; wave barrier
	s_and_saveexec_b64 s[16:17], s[0:1]
	s_cbranch_execz .LBB1_32
; %bb.24:                               ;   in Loop: Header=BB1_14 Depth=1
	s_load_dword s20, s[24:25], 0x4
	v_mov_b32_e32 v11, v3
	v_mov_b32_e32 v13, v37
	;; [unrolled: 1-line block ×3, first 2 shown]
	s_waitcnt lgkmcnt(0)
	s_cmp_lt_u32 s14, s20
	s_cselect_b32 s20, 14, 20
	s_add_u32 s20, s24, s20
	s_addc_u32 s21, s25, 0
	global_load_ushort v6, v3, s[20:21]
	s_mov_b64 s[20:21], 0
	s_waitcnt vmcnt(0)
	v_and_b32_e32 v29, 0xffff, v6
	v_lshlrev_b32_e32 v30, 5, v29
	s_branch .LBB1_26
.LBB1_25:                               ;   in Loop: Header=BB1_26 Depth=2
	s_or_b64 exec, exec, s[22:23]
	v_add_co_u32_e32 v10, vcc, s15, v10
	v_addc_co_u32_e32 v11, vcc, 0, v11, vcc
	v_cmp_lt_u64_e32 vcc, 2, v[10:11]
	v_add_u32_e32 v13, s36, v13
	s_or_b64 s[20:21], vcc, s[20:21]
	s_andn2_b64 exec, exec, s[20:21]
	s_cbranch_execz .LBB1_32
.LBB1_26:                               ;   Parent Loop BB1_14 Depth=1
                                        ; =>  This Loop Header: Depth=2
                                        ;       Child Loop BB1_29 Depth 3
                                        ;         Child Loop BB1_31 Depth 4
	s_and_saveexec_b64 s[22:23], s[4:5]
	s_cbranch_execz .LBB1_25
; %bb.27:                               ;   in Loop: Header=BB1_26 Depth=2
	s_load_dword s26, s[24:25], 0x0
	v_mul_lo_u32 v12, v10, s7
	v_mov_b32_e32 v24, v5
	v_mov_b32_e32 v34, v13
	;; [unrolled: 1-line block ×3, first 2 shown]
	s_waitcnt lgkmcnt(0)
	s_cmp_lt_u32 s6, s26
	s_cselect_b32 s26, 12, 18
	s_add_u32 s26, s24, s26
	s_addc_u32 s27, s25, 0
	global_load_ushort v6, v3, s[26:27]
	s_mov_b64 s[26:27], 0
	s_waitcnt vmcnt(0)
	v_and_b32_e32 v31, 0xffff, v6
	v_mul_lo_u32 v33, v31, 24
	v_lshlrev_b32_e32 v32, 3, v31
	s_branch .LBB1_29
.LBB1_28:                               ;   in Loop: Header=BB1_29 Depth=3
	s_or_b64 exec, exec, s[28:29]
	v_add_co_u32_e32 v23, vcc, v23, v29
	v_addc_co_u32_e32 v24, vcc, 0, v24, vcc
	v_cmp_lt_u64_e32 vcc, 2, v[23:24]
	v_add_u32_e32 v34, v34, v30
	s_or_b64 s[26:27], vcc, s[26:27]
	s_andn2_b64 exec, exec, s[26:27]
	s_cbranch_execz .LBB1_25
.LBB1_29:                               ;   Parent Loop BB1_14 Depth=1
                                        ;     Parent Loop BB1_26 Depth=2
                                        ; =>    This Loop Header: Depth=3
                                        ;         Child Loop BB1_31 Depth 4
	s_and_saveexec_b64 s[28:29], s[10:11]
	s_cbranch_execz .LBB1_28
; %bb.30:                               ;   in Loop: Header=BB1_29 Depth=3
	v_mad_u64_u32 v[25:26], s[30:31], v23, 24, v[12:13]
	v_mov_b32_e32 v28, v1
	s_mov_b64 s[30:31], 0
	ds_read2_b64 v[6:9], v25 offset1:1
	ds_read_b64 v[25:26], v25 offset:16
	v_mov_b32_e32 v48, v18
	v_mov_b32_e32 v49, v34
	;; [unrolled: 1-line block ×3, first 2 shown]
.LBB1_31:                               ;   Parent Loop BB1_14 Depth=1
                                        ;     Parent Loop BB1_26 Depth=2
                                        ;       Parent Loop BB1_29 Depth=3
                                        ; =>      This Inner Loop Header: Depth=4
	ds_read2_b64 v[50:53], v48 offset1:1
	ds_read_b64 v[54:55], v48 offset:16
	v_add_co_u32_e32 v27, vcc, v27, v31
	v_addc_co_u32_e32 v28, vcc, 0, v28, vcc
	s_waitcnt lgkmcnt(1)
	v_fma_f64 v[50:51], v[6:7], v[50:51], 0
	v_cmp_lt_u64_e32 vcc, 3, v[27:28]
	v_add_u32_e32 v48, v48, v33
	s_or_b64 s[30:31], vcc, s[30:31]
	v_fma_f64 v[50:51], v[8:9], v[52:53], v[50:51]
	s_waitcnt lgkmcnt(0)
	v_fma_f64 v[50:51], v[25:26], v[54:55], v[50:51]
	ds_write_b64 v49, v[50:51]
	v_add_u32_e32 v49, v49, v32
	s_andn2_b64 exec, exec, s[30:31]
	s_cbranch_execnz .LBB1_31
	s_branch .LBB1_28
.LBB1_32:                               ;   in Loop: Header=BB1_14 Depth=1
	s_or_b64 exec, exec, s[16:17]
	s_waitcnt lgkmcnt(0)
	; wave barrier
	s_and_saveexec_b64 s[16:17], s[0:1]
	s_cbranch_execz .LBB1_41
; %bb.33:                               ;   in Loop: Header=BB1_14 Depth=1
	s_load_dword s20, s[24:25], 0x4
	v_mov_b32_e32 v11, v3
	v_mov_b32_e32 v27, v40
	;; [unrolled: 1-line block ×4, first 2 shown]
	s_waitcnt lgkmcnt(0)
	s_cmp_lt_u32 s14, s20
	s_cselect_b32 s20, 14, 20
	s_add_u32 s20, s24, s20
	s_addc_u32 s21, s25, 0
	global_load_ushort v6, v3, s[20:21]
	s_mov_b64 s[20:21], 0
	s_waitcnt vmcnt(0)
	v_and_b32_e32 v29, 0xffff, v6
	v_lshlrev_b32_e32 v30, 5, v29
	s_branch .LBB1_35
.LBB1_34:                               ;   in Loop: Header=BB1_35 Depth=2
	s_or_b64 exec, exec, s[22:23]
	v_add_co_u32_e32 v10, vcc, s15, v10
	v_addc_co_u32_e32 v11, vcc, 0, v11, vcc
	v_cmp_lt_u64_e32 vcc, 2, v[10:11]
	v_add_u32_e32 v28, s37, v28
	s_or_b64 s[20:21], vcc, s[20:21]
	v_add_u32_e32 v27, s36, v27
	s_andn2_b64 exec, exec, s[20:21]
	s_cbranch_execz .LBB1_41
.LBB1_35:                               ;   Parent Loop BB1_14 Depth=1
                                        ; =>  This Loop Header: Depth=2
                                        ;       Child Loop BB1_38 Depth 3
                                        ;         Child Loop BB1_40 Depth 4
	s_and_saveexec_b64 s[22:23], s[12:13]
	s_cbranch_execz .LBB1_34
; %bb.36:                               ;   in Loop: Header=BB1_35 Depth=2
	s_load_dword s26, s[24:25], 0x0
	v_mov_b32_e32 v13, v5
	v_mov_b32_e32 v31, v28
	;; [unrolled: 1-line block ×3, first 2 shown]
	s_waitcnt lgkmcnt(0)
	s_cmp_lt_u32 s6, s26
	s_cselect_b32 s26, 12, 18
	s_add_u32 s26, s24, s26
	s_addc_u32 s27, s25, 0
	global_load_ushort v6, v3, s[26:27]
	s_mov_b64 s[26:27], 0
	s_waitcnt vmcnt(0)
	v_and_b32_e32 v32, 0xffff, v6
	v_lshlrev_b32_e32 v33, 3, v32
	s_branch .LBB1_38
.LBB1_37:                               ;   in Loop: Header=BB1_38 Depth=3
	s_or_b64 exec, exec, s[28:29]
	v_add_co_u32_e32 v12, vcc, v12, v29
	v_addc_co_u32_e32 v13, vcc, 0, v13, vcc
	v_cmp_lt_u64_e32 vcc, 3, v[12:13]
	v_add_u32_e32 v31, v31, v30
	s_or_b64 s[26:27], vcc, s[26:27]
	s_andn2_b64 exec, exec, s[26:27]
	s_cbranch_execz .LBB1_34
.LBB1_38:                               ;   Parent Loop BB1_14 Depth=1
                                        ;     Parent Loop BB1_35 Depth=2
                                        ; =>    This Loop Header: Depth=3
                                        ;         Child Loop BB1_40 Depth 4
	s_and_saveexec_b64 s[28:29], s[10:11]
	s_cbranch_execz .LBB1_37
; %bb.39:                               ;   in Loop: Header=BB1_38 Depth=3
	v_mul_lo_u32 v23, v12, 24
	v_mov_b32_e32 v26, v1
	s_mov_b64 s[30:31], 0
	v_mov_b32_e32 v34, 0
	ds_read2_b64 v[6:9], v23 offset0:128 offset1:129
	ds_read_b64 v[23:24], v23 offset:1040
	v_mov_b32_e32 v25, v0
.LBB1_40:                               ;   Parent Loop BB1_14 Depth=1
                                        ;     Parent Loop BB1_35 Depth=2
                                        ;       Parent Loop BB1_38 Depth=3
                                        ; =>      This Inner Loop Header: Depth=4
	v_add_u32_e32 v52, v27, v34
	ds_read2_b64 v[48:51], v52 offset1:4
	v_add_co_u32_e32 v25, vcc, v25, v32
	v_addc_co_u32_e32 v26, vcc, 0, v26, vcc
	s_waitcnt lgkmcnt(0)
	v_fma_f64 v[48:49], v[6:7], v[48:49], 0
	v_cmp_lt_u64_e32 vcc, 3, v[25:26]
	s_or_b64 s[30:31], vcc, s[30:31]
	v_fma_f64 v[48:49], v[8:9], v[50:51], v[48:49]
	ds_read_b64 v[50:51], v52 offset:64
	v_add_u32_e32 v52, v31, v34
	v_add_u32_e32 v34, v34, v33
	s_waitcnt lgkmcnt(0)
	v_fma_f64 v[48:49], v[23:24], v[50:51], v[48:49]
	ds_write_b64 v52, v[48:49]
	s_andn2_b64 exec, exec, s[30:31]
	s_cbranch_execnz .LBB1_40
	s_branch .LBB1_37
.LBB1_41:                               ;   in Loop: Header=BB1_14 Depth=1
	s_or_b64 exec, exec, s[16:17]
	s_waitcnt lgkmcnt(0)
	; wave barrier
	s_and_saveexec_b64 s[20:21], s[2:3]
	s_cbranch_execz .LBB1_50
; %bb.42:                               ;   in Loop: Header=BB1_14 Depth=1
	s_load_dword s16, s[24:25], 0x4
	v_mov_b32_e32 v10, v19
	v_mov_b32_e32 v13, v3
	s_mov_b64 s[22:23], 0
	v_mov_b32_e32 v34, v41
	s_waitcnt lgkmcnt(0)
	s_cmp_lt_u32 s14, s16
	s_cselect_b32 s16, 14, 20
	s_add_u32 s16, s24, s16
	s_addc_u32 s17, s25, 0
	global_load_ushort v6, v3, s[16:17]
	v_mov_b32_e32 v11, v20
	v_mov_b32_e32 v12, v2
	s_waitcnt vmcnt(0)
	v_and_b32_e32 v48, 0xffff, v6
	v_lshlrev_b32_e32 v49, 5, v48
	s_branch .LBB1_44
.LBB1_43:                               ;   in Loop: Header=BB1_44 Depth=2
	s_or_b64 exec, exec, s[16:17]
	v_add_co_u32_e32 v12, vcc, s15, v12
	v_addc_co_u32_e32 v13, vcc, 0, v13, vcc
	v_cmp_lt_u64_e32 vcc, 3, v[12:13]
	v_add_co_u32_e64 v10, s[16:17], s37, v10
	v_addc_co_u32_e64 v11, s[16:17], 0, v11, s[16:17]
	s_or_b64 s[22:23], vcc, s[22:23]
	v_add_u32_e32 v34, s37, v34
	s_andn2_b64 exec, exec, s[22:23]
	s_cbranch_execz .LBB1_50
.LBB1_44:                               ;   Parent Loop BB1_14 Depth=1
                                        ; =>  This Loop Header: Depth=2
                                        ;       Child Loop BB1_47 Depth 3
                                        ;         Child Loop BB1_49 Depth 4
	s_and_saveexec_b64 s[16:17], s[12:13]
	s_cbranch_execz .LBB1_43
; %bb.45:                               ;   in Loop: Header=BB1_44 Depth=2
	s_load_dword s26, s[24:25], 0x0
	v_mov_b32_e32 v27, v5
	v_mov_b32_e32 v50, v38
	;; [unrolled: 1-line block ×4, first 2 shown]
	s_waitcnt lgkmcnt(0)
	s_cmp_lt_u32 s6, s26
	s_cselect_b32 s26, 12, 18
	s_add_u32 s26, s24, s26
	s_addc_u32 s27, s25, 0
	global_load_ushort v6, v3, s[26:27]
	v_mad_u64_u32 v[23:24], s[26:27], v12, 24, v[16:17]
	v_mov_b32_e32 v25, v11
	s_mov_b64 s[26:27], 0
	v_mov_b32_e32 v24, v10
	s_waitcnt vmcnt(0)
	v_and_b32_e32 v52, 0xffff, v6
	v_lshlrev_b32_e32 v53, 3, v52
	s_branch .LBB1_47
.LBB1_46:                               ;   in Loop: Header=BB1_47 Depth=3
	s_or_b64 exec, exec, s[28:29]
	v_add_co_u32_e32 v26, vcc, v26, v48
	v_addc_co_u32_e32 v27, vcc, 0, v27, vcc
	v_add_co_u32_e32 v24, vcc, v24, v49
	v_addc_co_u32_e32 v25, vcc, 0, v25, vcc
	v_cmp_lt_u64_e32 vcc, 3, v[26:27]
	v_add_u32_e32 v51, v51, v49
	s_or_b64 s[26:27], vcc, s[26:27]
	v_add_u32_e32 v50, v50, v49
	s_andn2_b64 exec, exec, s[26:27]
	s_cbranch_execz .LBB1_43
.LBB1_47:                               ;   Parent Loop BB1_14 Depth=1
                                        ;     Parent Loop BB1_44 Depth=2
                                        ; =>    This Loop Header: Depth=3
                                        ;         Child Loop BB1_49 Depth 4
	s_and_saveexec_b64 s[28:29], s[10:11]
	s_cbranch_execz .LBB1_46
; %bb.48:                               ;   in Loop: Header=BB1_47 Depth=3
	ds_read2_b64 v[6:9], v23 offset1:1
	ds_read_b64 v[28:29], v23 offset:16
	v_mov_b32_e32 v31, v25
	v_mov_b32_e32 v33, v1
	s_mov_b64 s[30:31], 0
	v_mov_b32_e32 v54, 0
	v_mov_b32_e32 v30, v24
	v_mov_b32_e32 v32, v0
.LBB1_49:                               ;   Parent Loop BB1_14 Depth=1
                                        ;     Parent Loop BB1_44 Depth=2
                                        ;       Parent Loop BB1_47 Depth=3
                                        ; =>      This Inner Loop Header: Depth=4
	global_load_dwordx2 v[59:60], v[30:31], off
	v_add_u32_e32 v61, v50, v54
	ds_read2_b64 v[55:58], v61 offset1:16
	v_add_co_u32_e32 v32, vcc, v32, v52
	v_addc_co_u32_e32 v33, vcc, 0, v33, vcc
	s_waitcnt lgkmcnt(0)
	v_fma_f64 v[55:56], v[6:7], v[55:56], 0
	v_add_co_u32_e32 v30, vcc, v30, v53
	v_addc_co_u32_e32 v31, vcc, 0, v31, vcc
	v_cmp_lt_u64_e32 vcc, 3, v[32:33]
	s_or_b64 s[30:31], vcc, s[30:31]
	v_fma_f64 v[55:56], v[8:9], v[57:58], v[55:56]
	ds_read_b64 v[57:58], v61 offset:256
	s_waitcnt lgkmcnt(0)
	v_fma_f64 v[55:56], v[28:29], v[57:58], v[55:56]
	v_add_u32_e32 v57, v51, v54
	v_add_u32_e32 v54, v54, v53
	s_waitcnt vmcnt(0)
	v_mul_f64 v[55:56], v[59:60], v[55:56]
	ds_write_b64 v57, v[55:56]
	s_andn2_b64 exec, exec, s[30:31]
	s_cbranch_execnz .LBB1_49
	s_branch .LBB1_46
.LBB1_50:                               ;   in Loop: Header=BB1_14 Depth=1
	s_or_b64 exec, exec, s[20:21]
	s_waitcnt lgkmcnt(0)
	; wave barrier
	s_and_saveexec_b64 s[16:17], s[2:3]
	s_cbranch_execz .LBB1_59
; %bb.51:                               ;   in Loop: Header=BB1_14 Depth=1
	s_load_dword s20, s[24:25], 0x4
	v_mov_b32_e32 v24, v3
	v_mov_b32_e32 v31, v42
	;; [unrolled: 1-line block ×3, first 2 shown]
	s_waitcnt lgkmcnt(0)
	s_cmp_lt_u32 s14, s20
	s_cselect_b32 s20, 14, 20
	s_add_u32 s20, s24, s20
	s_addc_u32 s21, s25, 0
	global_load_ushort v6, v3, s[20:21]
	s_mov_b64 s[20:21], 0
	s_waitcnt vmcnt(0)
	v_and_b32_e32 v29, 0xffff, v6
	v_mul_lo_u32 v30, v29, 24
	s_branch .LBB1_53
.LBB1_52:                               ;   in Loop: Header=BB1_53 Depth=2
	s_or_b64 exec, exec, s[22:23]
	v_add_co_u32_e32 v23, vcc, s15, v23
	v_addc_co_u32_e32 v24, vcc, 0, v24, vcc
	v_cmp_lt_u64_e32 vcc, 3, v[23:24]
	v_add_u32_e32 v31, s36, v31
	s_or_b64 s[20:21], vcc, s[20:21]
	s_andn2_b64 exec, exec, s[20:21]
	s_cbranch_execz .LBB1_59
.LBB1_53:                               ;   Parent Loop BB1_14 Depth=1
                                        ; =>  This Loop Header: Depth=2
                                        ;       Child Loop BB1_56 Depth 3
                                        ;         Child Loop BB1_58 Depth 4
	s_and_saveexec_b64 s[22:23], s[12:13]
	s_cbranch_execz .LBB1_52
; %bb.54:                               ;   in Loop: Header=BB1_53 Depth=2
	s_load_dword s26, s[24:25], 0x0
	v_mov_b32_e32 v26, v5
	v_lshl_add_u32 v32, v23, 7, v47
	v_mov_b32_e32 v33, v31
	v_mov_b32_e32 v25, v4
	s_waitcnt lgkmcnt(0)
	s_cmp_lt_u32 s6, s26
	s_cselect_b32 s26, 12, 18
	s_add_u32 s26, s24, s26
	s_addc_u32 s27, s25, 0
	global_load_ushort v6, v3, s[26:27]
	s_mov_b64 s[26:27], 0
	s_waitcnt vmcnt(0)
	v_and_b32_e32 v34, 0xffff, v6
	v_lshlrev_b32_e32 v48, 3, v34
	v_lshlrev_b32_e32 v49, 5, v34
	s_branch .LBB1_56
.LBB1_55:                               ;   in Loop: Header=BB1_56 Depth=3
	s_or_b64 exec, exec, s[28:29]
	v_add_co_u32_e32 v25, vcc, v25, v29
	v_addc_co_u32_e32 v26, vcc, 0, v26, vcc
	v_cmp_lt_u64_e32 vcc, 3, v[25:26]
	v_add_u32_e32 v33, v33, v30
	s_or_b64 s[26:27], vcc, s[26:27]
	s_andn2_b64 exec, exec, s[26:27]
	s_cbranch_execz .LBB1_52
.LBB1_56:                               ;   Parent Loop BB1_14 Depth=1
                                        ;     Parent Loop BB1_53 Depth=2
                                        ; =>    This Loop Header: Depth=3
                                        ;         Child Loop BB1_58 Depth 4
	s_and_saveexec_b64 s[28:29], s[8:9]
	s_cbranch_execz .LBB1_55
; %bb.57:                               ;   in Loop: Header=BB1_56 Depth=3
	v_lshl_add_u32 v10, v25, 5, v32
	ds_read_b128 v[6:9], v10
	ds_read_b128 v[10:13], v10 offset:16
	v_mov_b32_e32 v28, v1
	s_mov_b64 s[30:31], 0
	v_mov_b32_e32 v50, v44
	v_mov_b32_e32 v51, v33
	v_mov_b32_e32 v27, v0
.LBB1_58:                               ;   Parent Loop BB1_14 Depth=1
                                        ;     Parent Loop BB1_53 Depth=2
                                        ;       Parent Loop BB1_56 Depth=3
                                        ; =>      This Inner Loop Header: Depth=4
	ds_read_b128 v[52:55], v50
	ds_read_b128 v[56:59], v50 offset:16
	v_add_co_u32_e32 v27, vcc, v27, v34
	v_addc_co_u32_e32 v28, vcc, 0, v28, vcc
	s_waitcnt lgkmcnt(1)
	v_fma_f64 v[52:53], v[6:7], v[52:53], 0
	v_cmp_lt_u64_e32 vcc, 2, v[27:28]
	v_add_u32_e32 v50, v50, v49
	s_or_b64 s[30:31], vcc, s[30:31]
	v_fma_f64 v[52:53], v[8:9], v[54:55], v[52:53]
	s_waitcnt lgkmcnt(0)
	v_fma_f64 v[52:53], v[10:11], v[56:57], v[52:53]
	v_fma_f64 v[52:53], v[12:13], v[58:59], v[52:53]
	ds_write_b64 v51, v[52:53]
	v_add_u32_e32 v51, v51, v48
	s_andn2_b64 exec, exec, s[30:31]
	s_cbranch_execnz .LBB1_58
	s_branch .LBB1_55
.LBB1_59:                               ;   in Loop: Header=BB1_14 Depth=1
	s_or_b64 exec, exec, s[16:17]
	s_waitcnt lgkmcnt(0)
	; wave barrier
	s_and_saveexec_b64 s[16:17], s[2:3]
	s_cbranch_execz .LBB1_68
; %bb.60:                               ;   in Loop: Header=BB1_14 Depth=1
	s_load_dword s20, s[24:25], 0x4
	v_mov_b32_e32 v24, v3
	v_mov_b32_e32 v31, v36
	;; [unrolled: 1-line block ×4, first 2 shown]
	s_waitcnt lgkmcnt(0)
	s_cmp_lt_u32 s14, s20
	s_cselect_b32 s20, 14, 20
	s_add_u32 s20, s24, s20
	s_addc_u32 s21, s25, 0
	global_load_ushort v6, v3, s[20:21]
	s_mov_b64 s[20:21], 0
	s_waitcnt vmcnt(0)
	v_and_b32_e32 v29, 0xffff, v6
	v_mul_lo_u32 v30, v29, 24
	s_branch .LBB1_62
.LBB1_61:                               ;   in Loop: Header=BB1_62 Depth=2
	s_or_b64 exec, exec, s[22:23]
	v_add_co_u32_e32 v23, vcc, s15, v23
	v_addc_co_u32_e32 v24, vcc, 0, v24, vcc
	v_cmp_lt_u64_e32 vcc, 3, v[23:24]
	v_add_u32_e32 v32, s33, v32
	s_or_b64 s[20:21], vcc, s[20:21]
	v_add_u32_e32 v31, s36, v31
	s_andn2_b64 exec, exec, s[20:21]
	s_cbranch_execz .LBB1_68
.LBB1_62:                               ;   Parent Loop BB1_14 Depth=1
                                        ; =>  This Loop Header: Depth=2
                                        ;       Child Loop BB1_65 Depth 3
                                        ;         Child Loop BB1_67 Depth 4
	s_and_saveexec_b64 s[22:23], s[4:5]
	s_cbranch_execz .LBB1_61
; %bb.63:                               ;   in Loop: Header=BB1_62 Depth=2
	s_load_dword s26, s[24:25], 0x0
	v_mov_b32_e32 v26, v5
	v_mov_b32_e32 v33, v32
	;; [unrolled: 1-line block ×3, first 2 shown]
	s_waitcnt lgkmcnt(0)
	s_cmp_lt_u32 s6, s26
	s_cselect_b32 s26, 12, 18
	s_add_u32 s26, s24, s26
	s_addc_u32 s27, s25, 0
	global_load_ushort v6, v3, s[26:27]
	s_mov_b64 s[26:27], 0
	s_waitcnt vmcnt(0)
	v_and_b32_e32 v34, 0xffff, v6
	v_lshlrev_b32_e32 v48, 3, v34
	s_branch .LBB1_65
.LBB1_64:                               ;   in Loop: Header=BB1_65 Depth=3
	s_or_b64 exec, exec, s[28:29]
	v_add_co_u32_e32 v25, vcc, v25, v29
	v_addc_co_u32_e32 v26, vcc, 0, v26, vcc
	v_cmp_lt_u64_e32 vcc, 2, v[25:26]
	v_add_u32_e32 v33, v33, v30
	s_or_b64 s[26:27], vcc, s[26:27]
	s_andn2_b64 exec, exec, s[26:27]
	s_cbranch_execz .LBB1_61
.LBB1_65:                               ;   Parent Loop BB1_14 Depth=1
                                        ;     Parent Loop BB1_62 Depth=2
                                        ; =>    This Loop Header: Depth=3
                                        ;         Child Loop BB1_67 Depth 4
	s_and_saveexec_b64 s[28:29], s[8:9]
	s_cbranch_execz .LBB1_64
; %bb.66:                               ;   in Loop: Header=BB1_65 Depth=3
	v_lshlrev_b32_e32 v10, 5, v25
	ds_read_b128 v[6:9], v10 offset:1120
	ds_read_b128 v[10:13], v10 offset:1136
	v_mov_b32_e32 v28, v1
	s_mov_b64 s[30:31], 0
	v_mov_b32_e32 v49, 0
	v_mov_b32_e32 v27, v0
.LBB1_67:                               ;   Parent Loop BB1_14 Depth=1
                                        ;     Parent Loop BB1_62 Depth=2
                                        ;       Parent Loop BB1_65 Depth=3
                                        ; =>      This Inner Loop Header: Depth=4
	v_add_u32_e32 v56, v31, v49
	ds_read2_b64 v[50:53], v56 offset1:3
	v_add_co_u32_e32 v27, vcc, v27, v34
	v_addc_co_u32_e32 v28, vcc, 0, v28, vcc
	s_waitcnt lgkmcnt(0)
	v_fma_f64 v[50:51], v[6:7], v[50:51], 0
	v_cmp_lt_u64_e32 vcc, 2, v[27:28]
	s_or_b64 s[30:31], vcc, s[30:31]
	v_fma_f64 v[54:55], v[8:9], v[52:53], v[50:51]
	ds_read2_b64 v[50:53], v56 offset0:6 offset1:9
	s_waitcnt lgkmcnt(0)
	v_fma_f64 v[50:51], v[10:11], v[50:51], v[54:55]
	v_add_u32_e32 v54, v33, v49
	v_add_u32_e32 v49, v49, v48
	v_fma_f64 v[50:51], v[12:13], v[52:53], v[50:51]
	ds_write_b64 v54, v[50:51]
	s_andn2_b64 exec, exec, s[30:31]
	s_cbranch_execnz .LBB1_67
	s_branch .LBB1_64
.LBB1_68:                               ;   in Loop: Header=BB1_14 Depth=1
	s_or_b64 exec, exec, s[16:17]
	s_waitcnt lgkmcnt(0)
	; wave barrier
	s_and_saveexec_b64 s[20:21], s[0:1]
	s_cbranch_execz .LBB1_13
; %bb.69:                               ;   in Loop: Header=BB1_14 Depth=1
	s_load_dword s16, s[24:25], 0x4
	v_mov_b32_e32 v24, v22
	v_mov_b32_e32 v26, v3
	s_mov_b64 s[22:23], 0
	v_mov_b32_e32 v23, v21
	s_waitcnt lgkmcnt(0)
	s_cmp_lt_u32 s14, s16
	s_cselect_b32 s16, 14, 20
	s_add_u32 s16, s24, s16
	s_addc_u32 s17, s25, 0
	global_load_ushort v6, v3, s[16:17]
	v_mov_b32_e32 v25, v2
	s_waitcnt vmcnt(0)
	v_and_b32_e32 v48, 0xffff, v6
	v_mul_lo_u32 v49, v48, 24
	s_branch .LBB1_71
.LBB1_70:                               ;   in Loop: Header=BB1_71 Depth=2
	s_or_b64 exec, exec, s[26:27]
	v_add_co_u32_e32 v25, vcc, s15, v25
	v_addc_co_u32_e32 v26, vcc, 0, v26, vcc
	v_cmp_lt_u64_e32 vcc, 2, v[25:26]
	s_or_b64 s[22:23], vcc, s[22:23]
	v_add_co_u32_e32 v23, vcc, s33, v23
	v_addc_co_u32_e32 v24, vcc, 0, v24, vcc
	s_andn2_b64 exec, exec, s[22:23]
	s_cbranch_execz .LBB1_13
.LBB1_71:                               ;   Parent Loop BB1_14 Depth=1
                                        ; =>  This Loop Header: Depth=2
                                        ;       Child Loop BB1_74 Depth 3
                                        ;         Child Loop BB1_76 Depth 4
	s_and_saveexec_b64 s[26:27], s[4:5]
	s_cbranch_execz .LBB1_70
; %bb.72:                               ;   in Loop: Header=BB1_71 Depth=2
	s_load_dword s16, s[24:25], 0xc
	v_mov_b32_e32 v28, v24
	v_mov_b32_e32 v30, v5
	v_lshl_add_u32 v50, v25, 5, v43
	s_mov_b64 s[28:29], 0
	s_waitcnt lgkmcnt(0)
	s_and_b32 s34, s16, 0xffff
	v_mov_b32_e32 v51, v46
	v_mov_b32_e32 v27, v23
	s_lshl_b32 s35, s34, 3
	v_mov_b32_e32 v29, v4
	s_branch .LBB1_74
.LBB1_73:                               ;   in Loop: Header=BB1_74 Depth=3
	s_or_b64 exec, exec, s[16:17]
	v_add_co_u32_e32 v29, vcc, v29, v48
	v_addc_co_u32_e32 v30, vcc, 0, v30, vcc
	v_cmp_lt_u64_e32 vcc, 2, v[29:30]
	v_add_co_u32_e64 v27, s[16:17], v27, v49
	v_addc_co_u32_e64 v28, s[16:17], 0, v28, s[16:17]
	s_or_b64 s[28:29], vcc, s[28:29]
	v_add_u32_e32 v51, v51, v49
	s_andn2_b64 exec, exec, s[28:29]
	s_cbranch_execz .LBB1_70
.LBB1_74:                               ;   Parent Loop BB1_14 Depth=1
                                        ;     Parent Loop BB1_71 Depth=2
                                        ; =>    This Loop Header: Depth=3
                                        ;         Child Loop BB1_76 Depth 4
	s_and_saveexec_b64 s[16:17], s[8:9]
	s_cbranch_execz .LBB1_73
; %bb.75:                               ;   in Loop: Header=BB1_74 Depth=3
	ds_read_b128 v[6:9], v50
	ds_read_b128 v[10:13], v50 offset:16
	v_mov_b32_e32 v32, v28
	v_mov_b32_e32 v34, v1
	s_mov_b64 s[30:31], 0
	v_mov_b32_e32 v52, v51
	v_mov_b32_e32 v31, v27
	;; [unrolled: 1-line block ×3, first 2 shown]
.LBB1_76:                               ;   Parent Loop BB1_14 Depth=1
                                        ;     Parent Loop BB1_71 Depth=2
                                        ;       Parent Loop BB1_74 Depth=3
                                        ; =>      This Inner Loop Header: Depth=4
	ds_read2_b64 v[53:56], v52 offset1:9
	v_add_co_u32_e32 v33, vcc, s34, v33
	v_addc_co_u32_e32 v34, vcc, 0, v34, vcc
	s_waitcnt lgkmcnt(0)
	v_fma_f64 v[53:54], v[53:54], v[6:7], 0
	v_cmp_lt_u64_e32 vcc, 2, v[33:34]
	s_or_b64 s[30:31], vcc, s[30:31]
	v_fma_f64 v[57:58], v[55:56], v[8:9], v[53:54]
	ds_read2_b64 v[53:56], v52 offset0:18 offset1:27
	v_add_u32_e32 v52, s35, v52
	s_waitcnt lgkmcnt(0)
	v_fma_f64 v[53:54], v[53:54], v[10:11], v[57:58]
	v_fma_f64 v[53:54], v[55:56], v[12:13], v[53:54]
	global_store_dwordx2 v[31:32], v[53:54], off
	v_add_co_u32_e32 v31, vcc, s35, v31
	v_addc_co_u32_e32 v32, vcc, 0, v32, vcc
	s_andn2_b64 exec, exec, s[30:31]
	s_cbranch_execnz .LBB1_76
	s_branch .LBB1_73
.LBB1_77:
	s_endpgm
	.section	.rodata,"a",@progbits
	.p2align	6, 0x0
	.amdhsa_kernel _ZN4RAJA34launch_new_reduce_global_fcn_fixedIZN8rajaperf4apps11MASSVEC3DPA17runHipVariantImplILm64ELm0EEEvNS1_9VariantIDEEUlNS_14LaunchContextTINS_3hip33LaunchContextIndicesAndDimsPolicyINS7_14IndicesAndDimsILb0ELb0ELb0ELb0EEEEEEEE_Li64ENS_4expt15ForallParamPackIJEEEEEvT_T1_
		.amdhsa_group_segment_fixed_size 1216
		.amdhsa_private_segment_fixed_size 0
		.amdhsa_kernarg_size 304
		.amdhsa_user_sgpr_count 6
		.amdhsa_user_sgpr_private_segment_buffer 1
		.amdhsa_user_sgpr_dispatch_ptr 0
		.amdhsa_user_sgpr_queue_ptr 0
		.amdhsa_user_sgpr_kernarg_segment_ptr 1
		.amdhsa_user_sgpr_dispatch_id 0
		.amdhsa_user_sgpr_flat_scratch_init 0
		.amdhsa_user_sgpr_private_segment_size 0
		.amdhsa_uses_dynamic_stack 0
		.amdhsa_system_sgpr_private_segment_wavefront_offset 0
		.amdhsa_system_sgpr_workgroup_id_x 1
		.amdhsa_system_sgpr_workgroup_id_y 1
		.amdhsa_system_sgpr_workgroup_id_z 0
		.amdhsa_system_sgpr_workgroup_info 0
		.amdhsa_system_vgpr_workitem_id 2
		.amdhsa_next_free_vgpr 62
		.amdhsa_next_free_sgpr 38
		.amdhsa_reserve_vcc 1
		.amdhsa_reserve_flat_scratch 0
		.amdhsa_float_round_mode_32 0
		.amdhsa_float_round_mode_16_64 0
		.amdhsa_float_denorm_mode_32 3
		.amdhsa_float_denorm_mode_16_64 3
		.amdhsa_dx10_clamp 1
		.amdhsa_ieee_mode 1
		.amdhsa_fp16_overflow 0
		.amdhsa_exception_fp_ieee_invalid_op 0
		.amdhsa_exception_fp_denorm_src 0
		.amdhsa_exception_fp_ieee_div_zero 0
		.amdhsa_exception_fp_ieee_overflow 0
		.amdhsa_exception_fp_ieee_underflow 0
		.amdhsa_exception_fp_ieee_inexact 0
		.amdhsa_exception_int_div_zero 0
	.end_amdhsa_kernel
	.section	.text._ZN4RAJA34launch_new_reduce_global_fcn_fixedIZN8rajaperf4apps11MASSVEC3DPA17runHipVariantImplILm64ELm0EEEvNS1_9VariantIDEEUlNS_14LaunchContextTINS_3hip33LaunchContextIndicesAndDimsPolicyINS7_14IndicesAndDimsILb0ELb0ELb0ELb0EEEEEEEE_Li64ENS_4expt15ForallParamPackIJEEEEEvT_T1_,"axG",@progbits,_ZN4RAJA34launch_new_reduce_global_fcn_fixedIZN8rajaperf4apps11MASSVEC3DPA17runHipVariantImplILm64ELm0EEEvNS1_9VariantIDEEUlNS_14LaunchContextTINS_3hip33LaunchContextIndicesAndDimsPolicyINS7_14IndicesAndDimsILb0ELb0ELb0ELb0EEEEEEEE_Li64ENS_4expt15ForallParamPackIJEEEEEvT_T1_,comdat
.Lfunc_end1:
	.size	_ZN4RAJA34launch_new_reduce_global_fcn_fixedIZN8rajaperf4apps11MASSVEC3DPA17runHipVariantImplILm64ELm0EEEvNS1_9VariantIDEEUlNS_14LaunchContextTINS_3hip33LaunchContextIndicesAndDimsPolicyINS7_14IndicesAndDimsILb0ELb0ELb0ELb0EEEEEEEE_Li64ENS_4expt15ForallParamPackIJEEEEEvT_T1_, .Lfunc_end1-_ZN4RAJA34launch_new_reduce_global_fcn_fixedIZN8rajaperf4apps11MASSVEC3DPA17runHipVariantImplILm64ELm0EEEvNS1_9VariantIDEEUlNS_14LaunchContextTINS_3hip33LaunchContextIndicesAndDimsPolicyINS7_14IndicesAndDimsILb0ELb0ELb0ELb0EEEEEEEE_Li64ENS_4expt15ForallParamPackIJEEEEEvT_T1_
                                        ; -- End function
	.set _ZN4RAJA34launch_new_reduce_global_fcn_fixedIZN8rajaperf4apps11MASSVEC3DPA17runHipVariantImplILm64ELm0EEEvNS1_9VariantIDEEUlNS_14LaunchContextTINS_3hip33LaunchContextIndicesAndDimsPolicyINS7_14IndicesAndDimsILb0ELb0ELb0ELb0EEEEEEEE_Li64ENS_4expt15ForallParamPackIJEEEEEvT_T1_.num_vgpr, 62
	.set _ZN4RAJA34launch_new_reduce_global_fcn_fixedIZN8rajaperf4apps11MASSVEC3DPA17runHipVariantImplILm64ELm0EEEvNS1_9VariantIDEEUlNS_14LaunchContextTINS_3hip33LaunchContextIndicesAndDimsPolicyINS7_14IndicesAndDimsILb0ELb0ELb0ELb0EEEEEEEE_Li64ENS_4expt15ForallParamPackIJEEEEEvT_T1_.num_agpr, 0
	.set _ZN4RAJA34launch_new_reduce_global_fcn_fixedIZN8rajaperf4apps11MASSVEC3DPA17runHipVariantImplILm64ELm0EEEvNS1_9VariantIDEEUlNS_14LaunchContextTINS_3hip33LaunchContextIndicesAndDimsPolicyINS7_14IndicesAndDimsILb0ELb0ELb0ELb0EEEEEEEE_Li64ENS_4expt15ForallParamPackIJEEEEEvT_T1_.numbered_sgpr, 38
	.set _ZN4RAJA34launch_new_reduce_global_fcn_fixedIZN8rajaperf4apps11MASSVEC3DPA17runHipVariantImplILm64ELm0EEEvNS1_9VariantIDEEUlNS_14LaunchContextTINS_3hip33LaunchContextIndicesAndDimsPolicyINS7_14IndicesAndDimsILb0ELb0ELb0ELb0EEEEEEEE_Li64ENS_4expt15ForallParamPackIJEEEEEvT_T1_.num_named_barrier, 0
	.set _ZN4RAJA34launch_new_reduce_global_fcn_fixedIZN8rajaperf4apps11MASSVEC3DPA17runHipVariantImplILm64ELm0EEEvNS1_9VariantIDEEUlNS_14LaunchContextTINS_3hip33LaunchContextIndicesAndDimsPolicyINS7_14IndicesAndDimsILb0ELb0ELb0ELb0EEEEEEEE_Li64ENS_4expt15ForallParamPackIJEEEEEvT_T1_.private_seg_size, 0
	.set _ZN4RAJA34launch_new_reduce_global_fcn_fixedIZN8rajaperf4apps11MASSVEC3DPA17runHipVariantImplILm64ELm0EEEvNS1_9VariantIDEEUlNS_14LaunchContextTINS_3hip33LaunchContextIndicesAndDimsPolicyINS7_14IndicesAndDimsILb0ELb0ELb0ELb0EEEEEEEE_Li64ENS_4expt15ForallParamPackIJEEEEEvT_T1_.uses_vcc, 1
	.set _ZN4RAJA34launch_new_reduce_global_fcn_fixedIZN8rajaperf4apps11MASSVEC3DPA17runHipVariantImplILm64ELm0EEEvNS1_9VariantIDEEUlNS_14LaunchContextTINS_3hip33LaunchContextIndicesAndDimsPolicyINS7_14IndicesAndDimsILb0ELb0ELb0ELb0EEEEEEEE_Li64ENS_4expt15ForallParamPackIJEEEEEvT_T1_.uses_flat_scratch, 0
	.set _ZN4RAJA34launch_new_reduce_global_fcn_fixedIZN8rajaperf4apps11MASSVEC3DPA17runHipVariantImplILm64ELm0EEEvNS1_9VariantIDEEUlNS_14LaunchContextTINS_3hip33LaunchContextIndicesAndDimsPolicyINS7_14IndicesAndDimsILb0ELb0ELb0ELb0EEEEEEEE_Li64ENS_4expt15ForallParamPackIJEEEEEvT_T1_.has_dyn_sized_stack, 0
	.set _ZN4RAJA34launch_new_reduce_global_fcn_fixedIZN8rajaperf4apps11MASSVEC3DPA17runHipVariantImplILm64ELm0EEEvNS1_9VariantIDEEUlNS_14LaunchContextTINS_3hip33LaunchContextIndicesAndDimsPolicyINS7_14IndicesAndDimsILb0ELb0ELb0ELb0EEEEEEEE_Li64ENS_4expt15ForallParamPackIJEEEEEvT_T1_.has_recursion, 0
	.set _ZN4RAJA34launch_new_reduce_global_fcn_fixedIZN8rajaperf4apps11MASSVEC3DPA17runHipVariantImplILm64ELm0EEEvNS1_9VariantIDEEUlNS_14LaunchContextTINS_3hip33LaunchContextIndicesAndDimsPolicyINS7_14IndicesAndDimsILb0ELb0ELb0ELb0EEEEEEEE_Li64ENS_4expt15ForallParamPackIJEEEEEvT_T1_.has_indirect_call, 0
	.section	.AMDGPU.csdata,"",@progbits
; Kernel info:
; codeLenInByte = 3716
; TotalNumSgprs: 42
; NumVgprs: 62
; ScratchSize: 0
; MemoryBound: 0
; FloatMode: 240
; IeeeMode: 1
; LDSByteSize: 1216 bytes/workgroup (compile time only)
; SGPRBlocks: 5
; VGPRBlocks: 15
; NumSGPRsForWavesPerEU: 42
; NumVGPRsForWavesPerEU: 62
; Occupancy: 4
; WaveLimiterHint : 0
; COMPUTE_PGM_RSRC2:SCRATCH_EN: 0
; COMPUTE_PGM_RSRC2:USER_SGPR: 6
; COMPUTE_PGM_RSRC2:TRAP_HANDLER: 0
; COMPUTE_PGM_RSRC2:TGID_X_EN: 1
; COMPUTE_PGM_RSRC2:TGID_Y_EN: 1
; COMPUTE_PGM_RSRC2:TGID_Z_EN: 0
; COMPUTE_PGM_RSRC2:TIDIG_COMP_CNT: 2
	.section	.text._ZN8rajaperf4apps17MassVec3DPADirectILm64EEEvPdS2_S2_S2_,"axG",@progbits,_ZN8rajaperf4apps17MassVec3DPADirectILm64EEEvPdS2_S2_S2_,comdat
	.protected	_ZN8rajaperf4apps17MassVec3DPADirectILm64EEEvPdS2_S2_S2_ ; -- Begin function _ZN8rajaperf4apps17MassVec3DPADirectILm64EEEvPdS2_S2_S2_
	.globl	_ZN8rajaperf4apps17MassVec3DPADirectILm64EEEvPdS2_S2_S2_
	.p2align	8
	.type	_ZN8rajaperf4apps17MassVec3DPADirectILm64EEEvPdS2_S2_S2_,@function
_ZN8rajaperf4apps17MassVec3DPADirectILm64EEEvPdS2_S2_S2_: ; @_ZN8rajaperf4apps17MassVec3DPADirectILm64EEEvPdS2_S2_S2_
; %bb.0:
	v_mov_b32_e32 v3, v1
	v_cmp_ne_u32_e32 vcc, 0, v2
	v_cmp_lt_u32_e64 s[0:1], 2, v3
	s_or_b64 s[0:1], vcc, s[0:1]
	s_and_saveexec_b64 s[2:3], s[0:1]
	s_xor_b64 s[0:1], exec, s[2:3]
	s_or_saveexec_b64 s[0:1], s[0:1]
	s_load_dwordx8 s[8:15], s[4:5], 0x0
	s_xor_b64 exec, exec, s[0:1]
	s_cbranch_execz .LBB2_4
; %bb.1:
	v_cmp_gt_u32_e32 vcc, 4, v0
	s_and_saveexec_b64 s[2:3], vcc
	s_cbranch_execz .LBB2_3
; %bb.2:
	v_lshlrev_b32_e32 v1, 5, v3
	s_waitcnt lgkmcnt(0)
	v_mov_b32_e32 v4, s9
	v_add_co_u32_e32 v5, vcc, s8, v1
	v_addc_co_u32_e32 v6, vcc, 0, v4, vcc
	v_lshlrev_b32_e32 v7, 3, v0
	v_add_co_u32_e32 v4, vcc, v5, v7
	v_addc_co_u32_e32 v5, vcc, 0, v6, vcc
	global_load_dwordx2 v[4:5], v[4:5], off
	v_lshlrev_b32_e32 v6, 3, v3
	v_mad_u32_u24 v6, v0, 24, v6
	v_add_u32_e32 v1, v1, v7
	s_waitcnt vmcnt(0)
	ds_write_b64 v6, v[4:5] offset:1024
	ds_write_b64 v1, v[4:5] offset:1120
.LBB2_3:
	s_or_b64 exec, exec, s[2:3]
.LBB2_4:
	s_or_b64 exec, exec, s[0:1]
	v_mov_b32_e32 v1, 0
	v_mul_u32_u24_e32 v26, 24, v3
	s_waitcnt lgkmcnt(0)
	v_mov_b32_e32 v4, s13
	v_add_co_u32_e64 v5, s[4:5], s12, v26
	v_lshlrev_b64 v[11:12], 3, v[0:1]
	v_addc_co_u32_e64 v6, s[4:5], 0, v4, s[4:5]
	v_add_co_u32_e64 v4, s[4:5], v5, v11
	v_addc_co_u32_e64 v5, s[4:5], v6, v12, s[4:5]
	s_movk_i32 s7, 0x48
	v_mad_u64_u32 v[4:5], s[4:5], v2, s7, v[4:5]
	v_mul_lo_u32 v1, v3, 24
	v_cmp_lt_u32_e32 vcc, 2, v2
	v_cmp_lt_u32_e64 s[0:1], 2, v3
	s_mul_hi_u32 s19, s6, 0x288
	s_mul_i32 s18, s6, 0x288
	v_cmp_lt_u32_e64 s[2:3], 2, v0
	v_mov_b32_e32 v7, s19
	v_add_co_u32_e64 v6, s[4:5], s18, v4
	v_mad_u32_u24 v13, v2, s7, v1
	s_or_b64 s[8:9], vcc, s[0:1]
	v_addc_co_u32_e64 v7, s[4:5], v5, v7, s[4:5]
	v_lshl_add_u32 v14, v0, 3, v13
	s_nor_b64 s[12:13], s[8:9], s[2:3]
	s_and_saveexec_b64 s[4:5], s[12:13]
	s_cbranch_execz .LBB2_6
; %bb.5:
	global_load_dwordx2 v[4:5], v[6:7], off
	s_waitcnt vmcnt(0)
	ds_write_b64 v14, v[4:5]
.LBB2_6:
	s_or_b64 exec, exec, s[4:5]
	v_mov_b32_e32 v8, 0x400
	v_mov_b32_e32 v9, 0
	v_mad_u64_u32 v[4:5], s[16:17], v0, 24, v[8:9]
	s_movk_i32 s16, 0x60
	v_mov_b32_e32 v5, 0x200
	v_cmp_lt_u32_e64 s[4:5], 3, v0
	v_mad_u32_u24 v15, v2, s16, v5
	v_lshlrev_b32_e32 v20, 5, v3
	v_lshlrev_b32_e32 v25, 3, v0
	s_mov_b32 s7, 0
	v_mul_u32_u24_e32 v27, 0x48, v2
	v_add3_u32 v5, v15, v20, v25
	s_nor_b64 s[16:17], s[8:9], s[4:5]
	s_waitcnt lgkmcnt(0)
	; wave barrier
	s_and_saveexec_b64 s[8:9], s[16:17]
	s_cbranch_execz .LBB2_8
; %bb.7:
	ds_read2_b64 v[16:19], v4 offset1:1
	ds_read2_b64 v[21:24], v13 offset1:1
	ds_read_b64 v[28:29], v13 offset:16
	ds_read_b64 v[30:31], v4 offset:16
	s_waitcnt lgkmcnt(2)
	v_fma_f64 v[16:17], v[21:22], v[16:17], 0
	v_fma_f64 v[16:17], v[23:24], v[18:19], v[16:17]
	s_waitcnt lgkmcnt(0)
	v_fma_f64 v[16:17], v[28:29], v[30:31], v[16:17]
	ds_write_b64 v5, v[16:17]
.LBB2_8:
	s_or_b64 exec, exec, s[8:9]
	v_mad_u64_u32 v[8:9], s[20:21], v3, 24, v[8:9]
	v_cmp_lt_u32_e64 s[8:9], 3, v3
	v_mad_u32_u24 v21, v2, 56, v27
	s_or_b64 s[8:9], vcc, s[8:9]
	v_add_u32_e32 v17, v15, v25
	v_add3_u32 v16, v21, v20, v25
	s_nor_b64 s[8:9], s[8:9], s[4:5]
	s_waitcnt lgkmcnt(0)
	; wave barrier
	s_and_saveexec_b64 s[4:5], s[8:9]
	s_cbranch_execz .LBB2_10
; %bb.9:
	ds_read2_b64 v[28:31], v17 offset1:4
	ds_read2_b64 v[32:35], v8 offset1:1
	ds_read_b64 v[9:10], v17 offset:64
	ds_read_b64 v[22:23], v8 offset:16
	s_waitcnt lgkmcnt(2)
	v_fma_f64 v[18:19], v[28:29], v[32:33], 0
	v_fma_f64 v[18:19], v[30:31], v[34:35], v[18:19]
	s_waitcnt lgkmcnt(0)
	v_fma_f64 v[9:10], v[9:10], v[22:23], v[18:19]
	ds_write_b64 v16, v[9:10]
.LBB2_10:
	s_or_b64 exec, exec, s[4:5]
	v_mov_b32_e32 v9, 0x400
	v_mad_u32_u24 v18, v2, 24, v9
	v_mov_b32_e32 v9, s11
	v_add_co_u32_e32 v10, vcc, s10, v20
	v_addc_co_u32_e32 v9, vcc, 0, v9, vcc
	v_lshlrev_b32_e32 v22, 7, v2
	v_add_co_u32_e32 v10, vcc, v10, v22
	v_addc_co_u32_e32 v9, vcc, 0, v9, vcc
	s_lshl_b64 s[4:5], s[6:7], 9
	v_mov_b32_e32 v22, s5
	v_add_co_u32_e32 v10, vcc, s4, v10
	v_addc_co_u32_e32 v22, vcc, v9, v22, vcc
	v_lshlrev_b32_e32 v23, 5, v2
	v_add_co_u32_e32 v9, vcc, v10, v11
	v_add_u32_e32 v29, v15, v23
	v_or_b32_e32 v30, v2, v3
	v_addc_co_u32_e32 v10, vcc, v22, v12, vcc
	v_add_u32_e32 v15, v29, v20
	v_or_b32_e32 v22, v30, v0
	v_add_u32_e32 v19, v20, v25
	v_add_u32_e32 v20, v15, v25
	v_cmp_gt_u32_e32 vcc, 4, v22
	s_waitcnt lgkmcnt(0)
	; wave barrier
	s_and_saveexec_b64 s[4:5], vcc
	s_cbranch_execz .LBB2_12
; %bb.11:
	global_load_dwordx2 v[39:40], v[9:10], off
	ds_read2_b64 v[31:34], v19 offset1:16
	ds_read2_b64 v[35:38], v18 offset1:1
	ds_read_b64 v[41:42], v19 offset:256
	s_waitcnt lgkmcnt(1)
	v_fma_f64 v[31:32], v[31:32], v[35:36], 0
	v_fma_f64 v[31:32], v[33:34], v[37:38], v[31:32]
	ds_read_b64 v[33:34], v18 offset:16
	s_waitcnt lgkmcnt(0)
	v_fma_f64 v[31:32], v[41:42], v[33:34], v[31:32]
	s_waitcnt vmcnt(0)
	v_mul_f64 v[31:32], v[31:32], v[39:40]
	ds_write_b64 v20, v[31:32]
.LBB2_12:
	s_or_b64 exec, exec, s[4:5]
	v_mov_b32_e32 v24, 0x460
	v_lshl_add_u32 v22, v0, 5, v24
	v_sub_u32_e32 v0, v21, v23
	v_cmp_gt_u32_e64 s[4:5], 4, v30
	s_xor_b64 s[6:7], s[2:3], -1
	v_mul_hi_u32_u24_e32 v28, 0x48, v2
	v_add3_u32 v21, v0, v1, v25
	s_and_b64 s[6:7], s[4:5], s[6:7]
	s_waitcnt lgkmcnt(0)
	; wave barrier
	s_and_saveexec_b64 s[4:5], s[6:7]
	s_cbranch_execz .LBB2_14
; %bb.13:
	ds_read_b128 v[30:33], v22
	ds_read_b128 v[34:37], v15
	ds_read_b128 v[38:41], v15 offset:16
	ds_read_b128 v[42:45], v22 offset:16
	s_waitcnt lgkmcnt(2)
	v_fma_f64 v[30:31], v[34:35], v[30:31], 0
	v_fma_f64 v[30:31], v[36:37], v[32:33], v[30:31]
	s_waitcnt lgkmcnt(0)
	v_fma_f64 v[30:31], v[38:39], v[42:43], v[30:31]
	v_fma_f64 v[30:31], v[40:41], v[44:45], v[30:31]
	ds_write_b64 v21, v[30:31]
.LBB2_14:
	s_or_b64 exec, exec, s[4:5]
	v_cmp_lt_u32_e64 s[4:5], 3, v2
	s_movk_i32 s10, 0xffc8
	v_add_u32_e32 v23, v0, v25
	v_mad_i32_i24 v0, v2, s10, v29
	s_or_b64 s[0:1], s[4:5], s[0:1]
	v_lshl_add_u32 v24, v3, 5, v24
	v_add3_u32 v3, v0, v1, v25
	s_nor_b64 s[2:3], s[0:1], s[2:3]
	s_waitcnt lgkmcnt(0)
	; wave barrier
	s_and_saveexec_b64 s[0:1], s[2:3]
	s_cbranch_execz .LBB2_16
; %bb.15:
	ds_read2_b64 v[29:32], v23 offset1:3
	ds_read_b128 v[33:36], v24
	ds_read_b128 v[37:40], v24 offset:16
	s_waitcnt lgkmcnt(1)
	v_fma_f64 v[29:30], v[29:30], v[33:34], 0
	v_fma_f64 v[33:34], v[31:32], v[35:36], v[29:30]
	ds_read2_b64 v[29:32], v23 offset0:6 offset1:9
	s_waitcnt lgkmcnt(0)
	v_fma_f64 v[29:30], v[29:30], v[37:38], v[33:34]
	v_fma_f64 v[29:30], v[31:32], v[39:40], v[29:30]
	ds_write_b64 v3, v[29:30]
.LBB2_16:
	s_or_b64 exec, exec, s[0:1]
	s_movk_i32 s0, 0x200
	v_mov_b32_e32 v0, 0x460
	v_add3_u32 v25, v1, v25, s0
	v_lshl_add_u32 v2, v2, 5, v0
	v_mov_b32_e32 v0, s15
	v_add_co_u32_e64 v1, s[0:1], s14, v26
	v_addc_co_u32_e64 v0, s[0:1], 0, v0, s[0:1]
	v_add_co_u32_e64 v1, s[0:1], v1, v11
	v_addc_co_u32_e64 v0, s[0:1], v0, v12, s[0:1]
	;; [unrolled: 2-line block ×3, first 2 shown]
	v_mov_b32_e32 v12, s19
	v_add_co_u32_e64 v0, s[0:1], s18, v1
	v_addc_co_u32_e64 v1, s[0:1], v11, v12, s[0:1]
	s_waitcnt lgkmcnt(0)
	; wave barrier
	s_and_saveexec_b64 s[0:1], s[12:13]
	s_cbranch_execz .LBB2_18
; %bb.17:
	ds_read2_b64 v[26:29], v25 offset1:9
	ds_read_b128 v[30:33], v2
	ds_read_b128 v[34:37], v2 offset:16
	s_waitcnt lgkmcnt(1)
	v_fma_f64 v[11:12], v[26:27], v[30:31], 0
	v_fma_f64 v[11:12], v[28:29], v[32:33], v[11:12]
	ds_read2_b64 v[26:29], v25 offset0:18 offset1:27
	s_waitcnt lgkmcnt(0)
	v_fma_f64 v[11:12], v[26:27], v[34:35], v[11:12]
	v_fma_f64 v[11:12], v[28:29], v[36:37], v[11:12]
	global_store_dwordx2 v[0:1], v[11:12], off
.LBB2_18:
	s_or_b64 exec, exec, s[0:1]
	; wave barrier
	s_and_saveexec_b64 s[0:1], s[12:13]
	s_cbranch_execz .LBB2_20
; %bb.19:
	global_load_dwordx2 v[11:12], v[6:7], off offset:216
	s_waitcnt vmcnt(0)
	ds_write_b64 v14, v[11:12]
.LBB2_20:
	s_or_b64 exec, exec, s[0:1]
	s_waitcnt lgkmcnt(0)
	; wave barrier
	s_and_saveexec_b64 s[0:1], s[16:17]
	s_cbranch_execz .LBB2_22
; %bb.21:
	ds_read2_b64 v[26:29], v4 offset1:1
	ds_read2_b64 v[30:33], v13 offset1:1
	ds_read_b64 v[11:12], v13 offset:16
	ds_read_b64 v[34:35], v4 offset:16
	s_waitcnt lgkmcnt(2)
	v_fma_f64 v[26:27], v[30:31], v[26:27], 0
	v_fma_f64 v[26:27], v[32:33], v[28:29], v[26:27]
	s_waitcnt lgkmcnt(0)
	v_fma_f64 v[11:12], v[11:12], v[34:35], v[26:27]
	ds_write_b64 v5, v[11:12]
.LBB2_22:
	s_or_b64 exec, exec, s[0:1]
	s_waitcnt lgkmcnt(0)
	; wave barrier
	s_and_saveexec_b64 s[0:1], s[8:9]
	s_cbranch_execz .LBB2_24
; %bb.23:
	ds_read2_b64 v[26:29], v17 offset1:4
	ds_read2_b64 v[30:33], v8 offset1:1
	ds_read_b64 v[11:12], v17 offset:64
	s_waitcnt lgkmcnt(1)
	v_fma_f64 v[26:27], v[26:27], v[30:31], 0
	v_fma_f64 v[26:27], v[28:29], v[32:33], v[26:27]
	ds_read_b64 v[28:29], v8 offset:16
	s_waitcnt lgkmcnt(0)
	v_fma_f64 v[11:12], v[11:12], v[28:29], v[26:27]
	ds_write_b64 v16, v[11:12]
.LBB2_24:
	s_or_b64 exec, exec, s[0:1]
	s_waitcnt lgkmcnt(0)
	; wave barrier
	s_and_saveexec_b64 s[0:1], vcc
	s_cbranch_execz .LBB2_26
; %bb.25:
	global_load_dwordx2 v[11:12], v[9:10], off
	ds_read2_b64 v[26:29], v19 offset1:16
	ds_read2_b64 v[30:33], v18 offset1:1
	ds_read_b64 v[34:35], v19 offset:256
	s_waitcnt lgkmcnt(1)
	v_fma_f64 v[26:27], v[26:27], v[30:31], 0
	v_fma_f64 v[26:27], v[28:29], v[32:33], v[26:27]
	ds_read_b64 v[28:29], v18 offset:16
	s_waitcnt lgkmcnt(0)
	v_fma_f64 v[26:27], v[34:35], v[28:29], v[26:27]
	s_waitcnt vmcnt(0)
	v_mul_f64 v[11:12], v[26:27], v[11:12]
	ds_write_b64 v20, v[11:12]
.LBB2_26:
	s_or_b64 exec, exec, s[0:1]
	s_waitcnt lgkmcnt(0)
	; wave barrier
	s_and_saveexec_b64 s[0:1], s[6:7]
	s_cbranch_execz .LBB2_28
; %bb.27:
	ds_read_b128 v[26:29], v22
	ds_read_b128 v[30:33], v15
	ds_read_b128 v[34:37], v15 offset:16
	ds_read_b128 v[38:41], v22 offset:16
	s_waitcnt lgkmcnt(2)
	v_fma_f64 v[11:12], v[30:31], v[26:27], 0
	v_fma_f64 v[11:12], v[32:33], v[28:29], v[11:12]
	s_waitcnt lgkmcnt(0)
	v_fma_f64 v[11:12], v[34:35], v[38:39], v[11:12]
	v_fma_f64 v[11:12], v[36:37], v[40:41], v[11:12]
	ds_write_b64 v21, v[11:12]
.LBB2_28:
	s_or_b64 exec, exec, s[0:1]
	s_waitcnt lgkmcnt(0)
	; wave barrier
	s_and_saveexec_b64 s[0:1], s[2:3]
	s_cbranch_execz .LBB2_30
; %bb.29:
	ds_read2_b64 v[26:29], v23 offset1:3
	ds_read_b128 v[30:33], v24
	ds_read_b128 v[34:37], v24 offset:16
	s_waitcnt lgkmcnt(1)
	v_fma_f64 v[11:12], v[26:27], v[30:31], 0
	v_fma_f64 v[11:12], v[28:29], v[32:33], v[11:12]
	ds_read2_b64 v[26:29], v23 offset0:6 offset1:9
	s_waitcnt lgkmcnt(0)
	v_fma_f64 v[11:12], v[26:27], v[34:35], v[11:12]
	v_fma_f64 v[11:12], v[28:29], v[36:37], v[11:12]
	ds_write_b64 v3, v[11:12]
.LBB2_30:
	s_or_b64 exec, exec, s[0:1]
	s_waitcnt lgkmcnt(0)
	; wave barrier
	s_and_saveexec_b64 s[0:1], s[12:13]
	s_cbranch_execz .LBB2_32
; %bb.31:
	ds_read2_b64 v[26:29], v25 offset1:9
	ds_read_b128 v[30:33], v2
	ds_read_b128 v[34:37], v2 offset:16
	s_waitcnt lgkmcnt(1)
	v_fma_f64 v[11:12], v[26:27], v[30:31], 0
	v_fma_f64 v[11:12], v[28:29], v[32:33], v[11:12]
	ds_read2_b64 v[26:29], v25 offset0:18 offset1:27
	s_waitcnt lgkmcnt(0)
	v_fma_f64 v[11:12], v[26:27], v[34:35], v[11:12]
	v_fma_f64 v[11:12], v[28:29], v[36:37], v[11:12]
	global_store_dwordx2 v[0:1], v[11:12], off offset:216
.LBB2_32:
	s_or_b64 exec, exec, s[0:1]
	; wave barrier
	s_and_saveexec_b64 s[0:1], s[12:13]
	s_cbranch_execz .LBB2_34
; %bb.33:
	global_load_dwordx2 v[6:7], v[6:7], off offset:432
	s_waitcnt vmcnt(0)
	ds_write_b64 v14, v[6:7]
.LBB2_34:
	s_or_b64 exec, exec, s[0:1]
	s_waitcnt lgkmcnt(0)
	; wave barrier
	s_and_saveexec_b64 s[0:1], s[16:17]
	s_cbranch_execz .LBB2_36
; %bb.35:
	ds_read2_b64 v[26:29], v4 offset1:1
	ds_read2_b64 v[30:33], v13 offset1:1
	ds_read_b64 v[6:7], v13 offset:16
	ds_read_b64 v[11:12], v4 offset:16
	s_waitcnt lgkmcnt(2)
	v_fma_f64 v[13:14], v[30:31], v[26:27], 0
	v_fma_f64 v[13:14], v[32:33], v[28:29], v[13:14]
	s_waitcnt lgkmcnt(0)
	v_fma_f64 v[6:7], v[6:7], v[11:12], v[13:14]
	ds_write_b64 v5, v[6:7]
.LBB2_36:
	s_or_b64 exec, exec, s[0:1]
	s_waitcnt lgkmcnt(0)
	; wave barrier
	s_and_saveexec_b64 s[0:1], s[8:9]
	s_cbranch_execz .LBB2_38
; %bb.37:
	ds_read2_b64 v[4:7], v17 offset1:4
	ds_read2_b64 v[11:14], v8 offset1:1
	ds_read_b64 v[26:27], v17 offset:64
	s_waitcnt lgkmcnt(1)
	v_fma_f64 v[4:5], v[4:5], v[11:12], 0
	v_fma_f64 v[4:5], v[6:7], v[13:14], v[4:5]
	ds_read_b64 v[6:7], v8 offset:16
	s_waitcnt lgkmcnt(0)
	v_fma_f64 v[4:5], v[26:27], v[6:7], v[4:5]
	ds_write_b64 v16, v[4:5]
.LBB2_38:
	s_or_b64 exec, exec, s[0:1]
	s_waitcnt lgkmcnt(0)
	; wave barrier
	s_and_saveexec_b64 s[0:1], vcc
	s_cbranch_execz .LBB2_40
; %bb.39:
	global_load_dwordx2 v[12:13], v[9:10], off
	ds_read2_b64 v[4:7], v19 offset1:16
	ds_read2_b64 v[8:11], v18 offset1:1
	ds_read_b64 v[16:17], v19 offset:256
	s_waitcnt lgkmcnt(1)
	v_fma_f64 v[4:5], v[4:5], v[8:9], 0
	v_fma_f64 v[4:5], v[6:7], v[10:11], v[4:5]
	ds_read_b64 v[6:7], v18 offset:16
	s_waitcnt lgkmcnt(0)
	v_fma_f64 v[4:5], v[16:17], v[6:7], v[4:5]
	s_waitcnt vmcnt(0)
	v_mul_f64 v[4:5], v[4:5], v[12:13]
	ds_write_b64 v20, v[4:5]
.LBB2_40:
	s_or_b64 exec, exec, s[0:1]
	s_waitcnt lgkmcnt(0)
	; wave barrier
	s_and_saveexec_b64 s[0:1], s[6:7]
	s_cbranch_execz .LBB2_42
; %bb.41:
	ds_read_b128 v[4:7], v22
	ds_read_b128 v[8:11], v15
	ds_read_b128 v[12:15], v15 offset:16
	ds_read_b128 v[16:19], v22 offset:16
	s_waitcnt lgkmcnt(2)
	v_fma_f64 v[4:5], v[8:9], v[4:5], 0
	v_fma_f64 v[4:5], v[10:11], v[6:7], v[4:5]
	s_waitcnt lgkmcnt(0)
	v_fma_f64 v[4:5], v[12:13], v[16:17], v[4:5]
	v_fma_f64 v[4:5], v[14:15], v[18:19], v[4:5]
	ds_write_b64 v21, v[4:5]
.LBB2_42:
	s_or_b64 exec, exec, s[0:1]
	s_waitcnt lgkmcnt(0)
	; wave barrier
	s_and_saveexec_b64 s[0:1], s[2:3]
	s_cbranch_execz .LBB2_44
; %bb.43:
	ds_read2_b64 v[4:7], v23 offset1:3
	ds_read_b128 v[8:11], v24
	ds_read_b128 v[12:15], v24 offset:16
	s_waitcnt lgkmcnt(1)
	v_fma_f64 v[4:5], v[4:5], v[8:9], 0
	v_fma_f64 v[8:9], v[6:7], v[10:11], v[4:5]
	ds_read2_b64 v[4:7], v23 offset0:6 offset1:9
	s_waitcnt lgkmcnt(0)
	v_fma_f64 v[4:5], v[4:5], v[12:13], v[8:9]
	v_fma_f64 v[4:5], v[6:7], v[14:15], v[4:5]
	ds_write_b64 v3, v[4:5]
.LBB2_44:
	s_or_b64 exec, exec, s[0:1]
	s_waitcnt lgkmcnt(0)
	; wave barrier
	s_and_saveexec_b64 s[0:1], s[12:13]
	s_cbranch_execz .LBB2_46
; %bb.45:
	ds_read2_b64 v[3:6], v25 offset1:9
	ds_read_b128 v[7:10], v2
	ds_read_b128 v[11:14], v2 offset:16
	s_waitcnt lgkmcnt(1)
	v_fma_f64 v[2:3], v[3:4], v[7:8], 0
	v_fma_f64 v[6:7], v[5:6], v[9:10], v[2:3]
	ds_read2_b64 v[2:5], v25 offset0:18 offset1:27
	s_waitcnt lgkmcnt(0)
	v_fma_f64 v[2:3], v[2:3], v[11:12], v[6:7]
	v_fma_f64 v[2:3], v[4:5], v[13:14], v[2:3]
	global_store_dwordx2 v[0:1], v[2:3], off offset:432
.LBB2_46:
	s_or_b64 exec, exec, s[0:1]
	; wave barrier
	s_endpgm
	.section	.rodata,"a",@progbits
	.p2align	6, 0x0
	.amdhsa_kernel _ZN8rajaperf4apps17MassVec3DPADirectILm64EEEvPdS2_S2_S2_
		.amdhsa_group_segment_fixed_size 1216
		.amdhsa_private_segment_fixed_size 0
		.amdhsa_kernarg_size 32
		.amdhsa_user_sgpr_count 6
		.amdhsa_user_sgpr_private_segment_buffer 1
		.amdhsa_user_sgpr_dispatch_ptr 0
		.amdhsa_user_sgpr_queue_ptr 0
		.amdhsa_user_sgpr_kernarg_segment_ptr 1
		.amdhsa_user_sgpr_dispatch_id 0
		.amdhsa_user_sgpr_flat_scratch_init 0
		.amdhsa_user_sgpr_private_segment_size 0
		.amdhsa_uses_dynamic_stack 0
		.amdhsa_system_sgpr_private_segment_wavefront_offset 0
		.amdhsa_system_sgpr_workgroup_id_x 1
		.amdhsa_system_sgpr_workgroup_id_y 0
		.amdhsa_system_sgpr_workgroup_id_z 0
		.amdhsa_system_sgpr_workgroup_info 0
		.amdhsa_system_vgpr_workitem_id 2
		.amdhsa_next_free_vgpr 46
		.amdhsa_next_free_sgpr 22
		.amdhsa_reserve_vcc 1
		.amdhsa_reserve_flat_scratch 0
		.amdhsa_float_round_mode_32 0
		.amdhsa_float_round_mode_16_64 0
		.amdhsa_float_denorm_mode_32 3
		.amdhsa_float_denorm_mode_16_64 3
		.amdhsa_dx10_clamp 1
		.amdhsa_ieee_mode 1
		.amdhsa_fp16_overflow 0
		.amdhsa_exception_fp_ieee_invalid_op 0
		.amdhsa_exception_fp_denorm_src 0
		.amdhsa_exception_fp_ieee_div_zero 0
		.amdhsa_exception_fp_ieee_overflow 0
		.amdhsa_exception_fp_ieee_underflow 0
		.amdhsa_exception_fp_ieee_inexact 0
		.amdhsa_exception_int_div_zero 0
	.end_amdhsa_kernel
	.section	.text._ZN8rajaperf4apps17MassVec3DPADirectILm64EEEvPdS2_S2_S2_,"axG",@progbits,_ZN8rajaperf4apps17MassVec3DPADirectILm64EEEvPdS2_S2_S2_,comdat
.Lfunc_end2:
	.size	_ZN8rajaperf4apps17MassVec3DPADirectILm64EEEvPdS2_S2_S2_, .Lfunc_end2-_ZN8rajaperf4apps17MassVec3DPADirectILm64EEEvPdS2_S2_S2_
                                        ; -- End function
	.set _ZN8rajaperf4apps17MassVec3DPADirectILm64EEEvPdS2_S2_S2_.num_vgpr, 46
	.set _ZN8rajaperf4apps17MassVec3DPADirectILm64EEEvPdS2_S2_S2_.num_agpr, 0
	.set _ZN8rajaperf4apps17MassVec3DPADirectILm64EEEvPdS2_S2_S2_.numbered_sgpr, 22
	.set _ZN8rajaperf4apps17MassVec3DPADirectILm64EEEvPdS2_S2_S2_.num_named_barrier, 0
	.set _ZN8rajaperf4apps17MassVec3DPADirectILm64EEEvPdS2_S2_S2_.private_seg_size, 0
	.set _ZN8rajaperf4apps17MassVec3DPADirectILm64EEEvPdS2_S2_S2_.uses_vcc, 1
	.set _ZN8rajaperf4apps17MassVec3DPADirectILm64EEEvPdS2_S2_S2_.uses_flat_scratch, 0
	.set _ZN8rajaperf4apps17MassVec3DPADirectILm64EEEvPdS2_S2_S2_.has_dyn_sized_stack, 0
	.set _ZN8rajaperf4apps17MassVec3DPADirectILm64EEEvPdS2_S2_S2_.has_recursion, 0
	.set _ZN8rajaperf4apps17MassVec3DPADirectILm64EEEvPdS2_S2_S2_.has_indirect_call, 0
	.section	.AMDGPU.csdata,"",@progbits
; Kernel info:
; codeLenInByte = 2536
; TotalNumSgprs: 26
; NumVgprs: 46
; ScratchSize: 0
; MemoryBound: 1
; FloatMode: 240
; IeeeMode: 1
; LDSByteSize: 1216 bytes/workgroup (compile time only)
; SGPRBlocks: 3
; VGPRBlocks: 11
; NumSGPRsForWavesPerEU: 26
; NumVGPRsForWavesPerEU: 46
; Occupancy: 5
; WaveLimiterHint : 0
; COMPUTE_PGM_RSRC2:SCRATCH_EN: 0
; COMPUTE_PGM_RSRC2:USER_SGPR: 6
; COMPUTE_PGM_RSRC2:TRAP_HANDLER: 0
; COMPUTE_PGM_RSRC2:TGID_X_EN: 1
; COMPUTE_PGM_RSRC2:TGID_Y_EN: 0
; COMPUTE_PGM_RSRC2:TGID_Z_EN: 0
; COMPUTE_PGM_RSRC2:TIDIG_COMP_CNT: 2
	.section	.text._ZN4RAJA34launch_new_reduce_global_fcn_fixedIZN8rajaperf4apps11MASSVEC3DPA17runHipVariantImplILm64ELm1EEEvNS1_9VariantIDEEUlNS_14LaunchContextTINS_3hip33LaunchContextIndicesAndDimsPolicyINS7_14IndicesAndDimsILb0ELb0ELb0ELb0EEEEEEEE_Li64ENS_4expt15ForallParamPackIJEEEEEvT_T1_,"axG",@progbits,_ZN4RAJA34launch_new_reduce_global_fcn_fixedIZN8rajaperf4apps11MASSVEC3DPA17runHipVariantImplILm64ELm1EEEvNS1_9VariantIDEEUlNS_14LaunchContextTINS_3hip33LaunchContextIndicesAndDimsPolicyINS7_14IndicesAndDimsILb0ELb0ELb0ELb0EEEEEEEE_Li64ENS_4expt15ForallParamPackIJEEEEEvT_T1_,comdat
	.protected	_ZN4RAJA34launch_new_reduce_global_fcn_fixedIZN8rajaperf4apps11MASSVEC3DPA17runHipVariantImplILm64ELm1EEEvNS1_9VariantIDEEUlNS_14LaunchContextTINS_3hip33LaunchContextIndicesAndDimsPolicyINS7_14IndicesAndDimsILb0ELb0ELb0ELb0EEEEEEEE_Li64ENS_4expt15ForallParamPackIJEEEEEvT_T1_ ; -- Begin function _ZN4RAJA34launch_new_reduce_global_fcn_fixedIZN8rajaperf4apps11MASSVEC3DPA17runHipVariantImplILm64ELm1EEEvNS1_9VariantIDEEUlNS_14LaunchContextTINS_3hip33LaunchContextIndicesAndDimsPolicyINS7_14IndicesAndDimsILb0ELb0ELb0ELb0EEEEEEEE_Li64ENS_4expt15ForallParamPackIJEEEEEvT_T1_
	.globl	_ZN4RAJA34launch_new_reduce_global_fcn_fixedIZN8rajaperf4apps11MASSVEC3DPA17runHipVariantImplILm64ELm1EEEvNS1_9VariantIDEEUlNS_14LaunchContextTINS_3hip33LaunchContextIndicesAndDimsPolicyINS7_14IndicesAndDimsILb0ELb0ELb0ELb0EEEEEEEE_Li64ENS_4expt15ForallParamPackIJEEEEEvT_T1_
	.p2align	8
	.type	_ZN4RAJA34launch_new_reduce_global_fcn_fixedIZN8rajaperf4apps11MASSVEC3DPA17runHipVariantImplILm64ELm1EEEvNS1_9VariantIDEEUlNS_14LaunchContextTINS_3hip33LaunchContextIndicesAndDimsPolicyINS7_14IndicesAndDimsILb0ELb0ELb0ELb0EEEEEEEE_Li64ENS_4expt15ForallParamPackIJEEEEEvT_T1_,@function
_ZN4RAJA34launch_new_reduce_global_fcn_fixedIZN8rajaperf4apps11MASSVEC3DPA17runHipVariantImplILm64ELm1EEEvNS1_9VariantIDEEUlNS_14LaunchContextTINS_3hip33LaunchContextIndicesAndDimsPolicyINS7_14IndicesAndDimsILb0ELb0ELb0ELb0EEEEEEEE_Li64ENS_4expt15ForallParamPackIJEEEEEvT_T1_: ; @_ZN4RAJA34launch_new_reduce_global_fcn_fixedIZN8rajaperf4apps11MASSVEC3DPA17runHipVariantImplILm64ELm1EEEvNS1_9VariantIDEEUlNS_14LaunchContextTINS_3hip33LaunchContextIndicesAndDimsPolicyINS7_14IndicesAndDimsILb0ELb0ELb0ELb0EEEEEEEE_Li64ENS_4expt15ForallParamPackIJEEEEEvT_T1_
; %bb.0:
	s_load_dwordx2 s[0:1], s[4:5], 0x0
	s_mov_b32 s7, 0
	v_mov_b32_e32 v6, s6
	v_mov_b32_e32 v7, s7
	s_waitcnt lgkmcnt(0)
	v_cmp_le_i64_e32 vcc, s[0:1], v[6:7]
	s_cbranch_vccnz .LBB3_46
; %bb.1:
	s_load_dwordx4 s[12:15], s[4:5], 0x10
	s_load_dwordx2 s[10:11], s[4:5], 0x20
	v_mov_b32_e32 v3, v0
	v_mov_b32_e32 v5, v2
	v_cmp_gt_u32_e64 s[0:1], 3, v1
	v_cmp_gt_u32_e64 s[2:3], 4, v3
	v_mov_b32_e32 v4, 0
	v_cmp_eq_u32_e32 vcc, 0, v5
	s_and_b64 s[0:1], s[0:1], s[2:3]
	v_lshlrev_b64 v[6:7], 3, v[3:4]
	s_and_b64 s[2:3], s[0:1], vcc
	v_lshlrev_b32_e32 v19, 5, v1
	s_and_saveexec_b64 s[0:1], s[2:3]
	s_cbranch_execz .LBB3_3
; %bb.2:
	s_load_dwordx2 s[2:3], s[4:5], 0x8
	s_waitcnt lgkmcnt(0)
	v_mov_b32_e32 v0, s3
	v_add_co_u32_e32 v2, vcc, s2, v6
	v_addc_co_u32_e32 v0, vcc, v0, v7, vcc
	v_add_co_u32_e32 v8, vcc, v2, v19
	v_addc_co_u32_e32 v9, vcc, 0, v0, vcc
	global_load_dwordx2 v[8:9], v[8:9], off
	v_mul_lo_u32 v0, v3, 24
	v_lshl_add_u32 v2, v3, 3, v19
	v_lshl_add_u32 v0, v1, 3, v0
	s_waitcnt vmcnt(0)
	ds_write_b64 v0, v[8:9] offset:1024
	ds_write_b64 v2, v[8:9] offset:1120
.LBB3_3:
	s_or_b64 exec, exec, s[0:1]
	v_mul_lo_u32 v26, v1, 24
	v_cmp_lt_u32_e32 vcc, 2, v5
	v_cmp_lt_u32_e64 s[0:1], 2, v1
	s_movk_i32 s4, 0x48
	v_cmp_lt_u32_e64 s[2:3], 2, v3
	v_mad_u32_u24 v14, v5, s4, v26
	s_or_b64 s[8:9], vcc, s[0:1]
	v_mul_hi_u32_u24_e32 v0, 24, v1
	v_mul_u32_u24_e32 v12, 24, v1
	v_mul_hi_u32_u24_e32 v4, 0x48, v5
	v_mul_u32_u24_e32 v13, 0x48, v5
	s_mul_hi_u32 s22, s6, 0x288
	s_mul_i32 s23, s6, 0x288
	v_lshl_add_u32 v15, v3, 3, v14
	s_nor_b64 s[16:17], s[8:9], s[2:3]
	s_and_saveexec_b64 s[18:19], s[16:17]
	s_cbranch_execz .LBB3_5
; %bb.4:
	s_waitcnt lgkmcnt(0)
	v_mov_b32_e32 v2, s13
	v_add_co_u32_e64 v8, s[4:5], s12, v6
	v_addc_co_u32_e64 v2, s[4:5], v2, v7, s[4:5]
	v_add_co_u32_e64 v8, s[4:5], v8, v12
	v_addc_co_u32_e64 v2, s[4:5], v2, v0, s[4:5]
	;; [unrolled: 2-line block ×3, first 2 shown]
	v_mov_b32_e32 v9, s22
	v_add_co_u32_e64 v8, s[4:5], s23, v8
	v_addc_co_u32_e64 v9, s[4:5], v2, v9, s[4:5]
	global_load_dwordx2 v[8:9], v[8:9], off
	s_waitcnt vmcnt(0)
	ds_write_b64 v15, v[8:9]
.LBB3_5:
	s_or_b64 exec, exec, s[18:19]
	v_mov_b32_e32 v10, 0x400
	v_mov_b32_e32 v11, 0
	v_mad_u64_u32 v[8:9], s[18:19], v3, 24, v[10:11]
	s_movk_i32 s18, 0x60
	v_mov_b32_e32 v2, 0x200
	v_cmp_lt_u32_e64 s[4:5], 3, v3
	v_mad_u32_u24 v23, v5, s18, v2
	v_lshlrev_b32_e32 v27, 3, v3
	v_add3_u32 v16, v23, v19, v27
	s_nor_b64 s[18:19], s[8:9], s[4:5]
	s_waitcnt lgkmcnt(0)
	; wave barrier
	s_and_saveexec_b64 s[8:9], s[18:19]
	s_cbranch_execz .LBB3_7
; %bb.6:
	ds_read2_b64 v[28:31], v14 offset1:1
	ds_read2_b64 v[32:35], v8 offset1:1
	ds_read_b64 v[20:21], v14 offset:16
	ds_read_b64 v[24:25], v8 offset:16
	s_waitcnt lgkmcnt(2)
	v_fma_f64 v[17:18], v[28:29], v[32:33], 0
	v_fma_f64 v[17:18], v[30:31], v[34:35], v[17:18]
	s_waitcnt lgkmcnt(0)
	v_fma_f64 v[17:18], v[20:21], v[24:25], v[17:18]
	ds_write_b64 v16, v[17:18]
.LBB3_7:
	s_or_b64 exec, exec, s[8:9]
	v_mad_u64_u32 v[9:10], s[20:21], v1, 24, v[10:11]
	v_cmp_lt_u32_e64 s[8:9], 3, v1
	v_mad_u32_u24 v24, v5, 56, v13
	s_or_b64 s[8:9], vcc, s[8:9]
	v_add_u32_e32 v21, v23, v27
	v_add3_u32 v20, v24, v19, v27
	s_nor_b64 s[8:9], s[8:9], s[4:5]
	s_waitcnt lgkmcnt(0)
	; wave barrier
	s_and_saveexec_b64 s[4:5], s[8:9]
	s_cbranch_execz .LBB3_9
; %bb.8:
	ds_read2_b64 v[28:31], v9 offset1:1
	ds_read2_b64 v[32:35], v21 offset1:4
	s_waitcnt lgkmcnt(0)
	v_fma_f64 v[10:11], v[32:33], v[28:29], 0
	ds_read_b64 v[17:18], v21 offset:64
	ds_read_b64 v[28:29], v9 offset:16
	v_fma_f64 v[10:11], v[34:35], v[30:31], v[10:11]
	s_waitcnt lgkmcnt(0)
	v_fma_f64 v[10:11], v[17:18], v[28:29], v[10:11]
	ds_write_b64 v20, v[10:11]
.LBB3_9:
	s_or_b64 exec, exec, s[4:5]
	v_lshlrev_b32_e32 v25, 5, v5
	v_mov_b32_e32 v2, 0
	v_mov_b32_e32 v10, 0x400
	v_add_u32_e32 v28, v23, v25
	v_or_b32_e32 v29, v5, v1
	v_mad_u32_u24 v17, v5, 24, v10
	v_lshlrev_b64 v[10:11], 5, v[1:2]
	v_add_u32_e32 v2, v28, v19
	v_or_b32_e32 v23, v29, v3
	v_add_u32_e32 v18, v19, v27
	v_lshlrev_b32_e32 v22, 7, v5
	s_lshl_b64 s[6:7], s[6:7], 9
	v_add_u32_e32 v19, v2, v27
	v_cmp_gt_u32_e32 vcc, 4, v23
	s_waitcnt lgkmcnt(0)
	; wave barrier
	s_and_saveexec_b64 s[20:21], vcc
	s_cbranch_execz .LBB3_11
; %bb.10:
	ds_read2_b64 v[30:33], v18 offset1:16
	ds_read2_b64 v[34:37], v17 offset1:1
	v_add_co_u32_e64 v23, s[4:5], s14, v6
	s_waitcnt lgkmcnt(0)
	v_fma_f64 v[30:31], v[30:31], v[34:35], 0
	v_fma_f64 v[30:31], v[32:33], v[36:37], v[30:31]
	ds_read_b64 v[32:33], v18 offset:256
	ds_read_b64 v[34:35], v17 offset:16
	s_waitcnt lgkmcnt(0)
	v_fma_f64 v[30:31], v[32:33], v[34:35], v[30:31]
	v_mov_b32_e32 v32, s15
	v_addc_co_u32_e64 v32, s[4:5], v32, v7, s[4:5]
	v_add_co_u32_e64 v23, s[4:5], v23, v10
	v_addc_co_u32_e64 v32, s[4:5], v32, v11, s[4:5]
	v_add_co_u32_e64 v23, s[4:5], v23, v22
	;; [unrolled: 2-line block ×3, first 2 shown]
	v_mov_b32_e32 v23, s7
	v_addc_co_u32_e64 v33, s[4:5], v33, v23, s[4:5]
	global_load_dwordx2 v[32:33], v[32:33], off
	s_waitcnt vmcnt(0)
	v_mul_f64 v[30:31], v[32:33], v[30:31]
	ds_write_b64 v19, v[30:31]
.LBB3_11:
	s_or_b64 exec, exec, s[20:21]
	v_mov_b32_e32 v30, 0x460
	v_sub_u32_e32 v24, v24, v25
	v_cmp_gt_u32_e64 s[4:5], 4, v29
	s_xor_b64 s[20:21], s[2:3], -1
	v_lshl_add_u32 v23, v3, 5, v30
	v_add3_u32 v3, v24, v26, v27
	s_and_b64 s[20:21], s[4:5], s[20:21]
	s_waitcnt lgkmcnt(0)
	; wave barrier
	s_and_saveexec_b64 s[4:5], s[20:21]
	s_cbranch_execz .LBB3_13
; %bb.12:
	ds_read_b128 v[31:34], v23
	ds_read_b128 v[35:38], v2
	ds_read_b128 v[39:42], v2 offset:16
	ds_read_b128 v[43:46], v23 offset:16
	s_waitcnt lgkmcnt(2)
	v_fma_f64 v[31:32], v[35:36], v[31:32], 0
	v_fma_f64 v[31:32], v[37:38], v[33:34], v[31:32]
	s_waitcnt lgkmcnt(0)
	v_fma_f64 v[31:32], v[39:40], v[43:44], v[31:32]
	v_fma_f64 v[31:32], v[41:42], v[45:46], v[31:32]
	ds_write_b64 v3, v[31:32]
.LBB3_13:
	s_or_b64 exec, exec, s[4:5]
	v_cmp_lt_u32_e64 s[4:5], 3, v5
	s_movk_i32 s24, 0xffc8
	v_lshl_add_u32 v25, v1, 5, v30
	v_mad_i32_i24 v1, v5, s24, v28
	s_or_b64 s[0:1], s[4:5], s[0:1]
	v_add_u32_e32 v24, v24, v27
	v_add3_u32 v1, v1, v26, v27
	s_nor_b64 s[2:3], s[0:1], s[2:3]
	s_waitcnt lgkmcnt(0)
	; wave barrier
	s_and_saveexec_b64 s[0:1], s[2:3]
	s_cbranch_execz .LBB3_15
; %bb.14:
	ds_read2_b64 v[28:31], v24 offset1:3
	ds_read_b128 v[32:35], v25
	ds_read_b128 v[36:39], v25 offset:16
	s_waitcnt lgkmcnt(1)
	v_fma_f64 v[28:29], v[28:29], v[32:33], 0
	v_fma_f64 v[32:33], v[30:31], v[34:35], v[28:29]
	ds_read2_b64 v[28:31], v24 offset0:6 offset1:9
	s_waitcnt lgkmcnt(0)
	v_fma_f64 v[28:29], v[28:29], v[36:37], v[32:33]
	v_fma_f64 v[28:29], v[30:31], v[38:39], v[28:29]
	ds_write_b64 v1, v[28:29]
.LBB3_15:
	s_or_b64 exec, exec, s[0:1]
	s_movk_i32 s0, 0x200
	v_add3_u32 v26, v26, v27, s0
	v_mov_b32_e32 v27, 0x460
	v_lshl_add_u32 v5, v5, 5, v27
	s_waitcnt lgkmcnt(0)
	; wave barrier
	s_and_saveexec_b64 s[4:5], s[16:17]
	s_cbranch_execz .LBB3_17
; %bb.16:
	ds_read2_b64 v[27:30], v26 offset1:9
	ds_read_b128 v[31:34], v5
	ds_read_b128 v[35:38], v5 offset:16
	s_waitcnt lgkmcnt(1)
	v_fma_f64 v[27:28], v[27:28], v[31:32], 0
	v_fma_f64 v[31:32], v[29:30], v[33:34], v[27:28]
	ds_read2_b64 v[27:30], v26 offset0:18 offset1:27
	v_mov_b32_e32 v33, s11
	s_waitcnt lgkmcnt(0)
	v_fma_f64 v[27:28], v[27:28], v[35:36], v[31:32]
	v_add_co_u32_e64 v31, s[0:1], s10, v6
	v_addc_co_u32_e64 v32, s[0:1], v33, v7, s[0:1]
	v_add_co_u32_e64 v31, s[0:1], v31, v12
	v_addc_co_u32_e64 v32, s[0:1], v32, v0, s[0:1]
	v_fma_f64 v[27:28], v[29:30], v[37:38], v[27:28]
	v_add_co_u32_e64 v29, s[0:1], v31, v13
	v_addc_co_u32_e64 v30, s[0:1], v32, v4, s[0:1]
	v_mov_b32_e32 v31, s22
	v_add_co_u32_e64 v29, s[0:1], s23, v29
	v_addc_co_u32_e64 v30, s[0:1], v30, v31, s[0:1]
	global_store_dwordx2 v[29:30], v[27:28], off
.LBB3_17:
	s_or_b64 exec, exec, s[4:5]
	; wave barrier
	s_and_saveexec_b64 s[4:5], s[16:17]
	s_cbranch_execz .LBB3_19
; %bb.18:
	v_mov_b32_e32 v27, s13
	v_add_co_u32_e64 v28, s[0:1], s12, v6
	v_addc_co_u32_e64 v27, s[0:1], v27, v7, s[0:1]
	v_add_co_u32_e64 v28, s[0:1], v28, v12
	v_addc_co_u32_e64 v27, s[0:1], v27, v0, s[0:1]
	v_add_co_u32_e64 v28, s[0:1], v28, v13
	v_addc_co_u32_e64 v29, s[0:1], v27, v4, s[0:1]
	v_mov_b32_e32 v30, s22
	v_add_co_u32_e64 v27, s[0:1], s23, v28
	v_addc_co_u32_e64 v28, s[0:1], v29, v30, s[0:1]
	global_load_dwordx2 v[27:28], v[27:28], off offset:216
	s_waitcnt vmcnt(0)
	ds_write_b64 v15, v[27:28]
.LBB3_19:
	s_or_b64 exec, exec, s[4:5]
	s_waitcnt lgkmcnt(0)
	; wave barrier
	s_and_saveexec_b64 s[0:1], s[18:19]
	s_cbranch_execz .LBB3_21
; %bb.20:
	ds_read2_b64 v[27:30], v8 offset1:1
	ds_read2_b64 v[31:34], v14 offset1:1
	ds_read_b64 v[35:36], v14 offset:16
	ds_read_b64 v[37:38], v8 offset:16
	s_waitcnt lgkmcnt(2)
	v_fma_f64 v[27:28], v[31:32], v[27:28], 0
	v_fma_f64 v[27:28], v[33:34], v[29:30], v[27:28]
	s_waitcnt lgkmcnt(0)
	v_fma_f64 v[27:28], v[35:36], v[37:38], v[27:28]
	ds_write_b64 v16, v[27:28]
.LBB3_21:
	s_or_b64 exec, exec, s[0:1]
	s_waitcnt lgkmcnt(0)
	; wave barrier
	s_and_saveexec_b64 s[0:1], s[8:9]
	s_cbranch_execz .LBB3_23
; %bb.22:
	ds_read2_b64 v[27:30], v21 offset1:4
	ds_read2_b64 v[31:34], v9 offset1:1
	ds_read_b64 v[35:36], v21 offset:64
	s_waitcnt lgkmcnt(1)
	v_fma_f64 v[27:28], v[27:28], v[31:32], 0
	v_fma_f64 v[27:28], v[29:30], v[33:34], v[27:28]
	ds_read_b64 v[29:30], v9 offset:16
	s_waitcnt lgkmcnt(0)
	v_fma_f64 v[27:28], v[35:36], v[29:30], v[27:28]
	ds_write_b64 v20, v[27:28]
.LBB3_23:
	s_or_b64 exec, exec, s[0:1]
	s_waitcnt lgkmcnt(0)
	; wave barrier
	s_and_saveexec_b64 s[4:5], vcc
	s_cbranch_execz .LBB3_25
; %bb.24:
	v_mov_b32_e32 v27, s15
	v_add_co_u32_e64 v28, s[0:1], s14, v6
	v_addc_co_u32_e64 v27, s[0:1], v27, v7, s[0:1]
	v_add_co_u32_e64 v28, s[0:1], v28, v10
	v_addc_co_u32_e64 v27, s[0:1], v27, v11, s[0:1]
	;; [unrolled: 2-line block ×3, first 2 shown]
	v_mov_b32_e32 v30, s7
	v_add_co_u32_e64 v27, s[0:1], s6, v28
	v_addc_co_u32_e64 v28, s[0:1], v29, v30, s[0:1]
	global_load_dwordx2 v[35:36], v[27:28], off
	ds_read2_b64 v[27:30], v18 offset1:16
	ds_read2_b64 v[31:34], v17 offset1:1
	ds_read_b64 v[37:38], v18 offset:256
	s_waitcnt lgkmcnt(1)
	v_fma_f64 v[27:28], v[27:28], v[31:32], 0
	v_fma_f64 v[27:28], v[29:30], v[33:34], v[27:28]
	ds_read_b64 v[29:30], v17 offset:16
	s_waitcnt lgkmcnt(0)
	v_fma_f64 v[27:28], v[37:38], v[29:30], v[27:28]
	s_waitcnt vmcnt(0)
	v_mul_f64 v[27:28], v[35:36], v[27:28]
	ds_write_b64 v19, v[27:28]
.LBB3_25:
	s_or_b64 exec, exec, s[4:5]
	s_waitcnt lgkmcnt(0)
	; wave barrier
	s_and_saveexec_b64 s[0:1], s[20:21]
	s_cbranch_execz .LBB3_27
; %bb.26:
	ds_read_b128 v[27:30], v23
	ds_read_b128 v[31:34], v2
	ds_read_b128 v[35:38], v2 offset:16
	ds_read_b128 v[39:42], v23 offset:16
	s_waitcnt lgkmcnt(2)
	v_fma_f64 v[27:28], v[31:32], v[27:28], 0
	v_fma_f64 v[27:28], v[33:34], v[29:30], v[27:28]
	s_waitcnt lgkmcnt(0)
	v_fma_f64 v[27:28], v[35:36], v[39:40], v[27:28]
	v_fma_f64 v[27:28], v[37:38], v[41:42], v[27:28]
	ds_write_b64 v3, v[27:28]
.LBB3_27:
	s_or_b64 exec, exec, s[0:1]
	s_waitcnt lgkmcnt(0)
	; wave barrier
	s_and_saveexec_b64 s[0:1], s[2:3]
	s_cbranch_execz .LBB3_29
; %bb.28:
	ds_read2_b64 v[27:30], v24 offset1:3
	ds_read_b128 v[31:34], v25
	ds_read_b128 v[35:38], v25 offset:16
	s_waitcnt lgkmcnt(1)
	v_fma_f64 v[27:28], v[27:28], v[31:32], 0
	v_fma_f64 v[31:32], v[29:30], v[33:34], v[27:28]
	ds_read2_b64 v[27:30], v24 offset0:6 offset1:9
	s_waitcnt lgkmcnt(0)
	v_fma_f64 v[27:28], v[27:28], v[35:36], v[31:32]
	v_fma_f64 v[27:28], v[29:30], v[37:38], v[27:28]
	ds_write_b64 v1, v[27:28]
.LBB3_29:
	s_or_b64 exec, exec, s[0:1]
	s_waitcnt lgkmcnt(0)
	; wave barrier
	s_and_saveexec_b64 s[4:5], s[16:17]
	s_cbranch_execz .LBB3_31
; %bb.30:
	ds_read2_b64 v[27:30], v26 offset1:9
	ds_read_b128 v[31:34], v5
	ds_read_b128 v[35:38], v5 offset:16
	s_waitcnt lgkmcnt(1)
	v_fma_f64 v[27:28], v[27:28], v[31:32], 0
	v_fma_f64 v[31:32], v[29:30], v[33:34], v[27:28]
	ds_read2_b64 v[27:30], v26 offset0:18 offset1:27
	v_mov_b32_e32 v33, s11
	s_waitcnt lgkmcnt(0)
	v_fma_f64 v[27:28], v[27:28], v[35:36], v[31:32]
	v_add_co_u32_e64 v31, s[0:1], s10, v6
	v_addc_co_u32_e64 v32, s[0:1], v33, v7, s[0:1]
	v_add_co_u32_e64 v31, s[0:1], v31, v12
	v_addc_co_u32_e64 v32, s[0:1], v32, v0, s[0:1]
	v_fma_f64 v[27:28], v[29:30], v[37:38], v[27:28]
	v_add_co_u32_e64 v29, s[0:1], v31, v13
	v_addc_co_u32_e64 v30, s[0:1], v32, v4, s[0:1]
	v_mov_b32_e32 v31, s22
	v_add_co_u32_e64 v29, s[0:1], s23, v29
	v_addc_co_u32_e64 v30, s[0:1], v30, v31, s[0:1]
	global_store_dwordx2 v[29:30], v[27:28], off offset:216
.LBB3_31:
	s_or_b64 exec, exec, s[4:5]
	; wave barrier
	s_and_saveexec_b64 s[4:5], s[16:17]
	s_cbranch_execz .LBB3_33
; %bb.32:
	v_mov_b32_e32 v27, s13
	v_add_co_u32_e64 v28, s[0:1], s12, v6
	v_addc_co_u32_e64 v27, s[0:1], v27, v7, s[0:1]
	v_add_co_u32_e64 v28, s[0:1], v28, v12
	v_addc_co_u32_e64 v27, s[0:1], v27, v0, s[0:1]
	;; [unrolled: 2-line block ×3, first 2 shown]
	v_mov_b32_e32 v30, s22
	v_add_co_u32_e64 v27, s[0:1], s23, v28
	v_addc_co_u32_e64 v28, s[0:1], v29, v30, s[0:1]
	global_load_dwordx2 v[27:28], v[27:28], off offset:432
	s_waitcnt vmcnt(0)
	ds_write_b64 v15, v[27:28]
.LBB3_33:
	s_or_b64 exec, exec, s[4:5]
	s_waitcnt lgkmcnt(0)
	; wave barrier
	s_and_saveexec_b64 s[0:1], s[18:19]
	s_cbranch_execz .LBB3_35
; %bb.34:
	ds_read2_b64 v[27:30], v8 offset1:1
	ds_read2_b64 v[31:34], v14 offset1:1
	ds_read_b64 v[14:15], v14 offset:16
	ds_read_b64 v[35:36], v8 offset:16
	s_waitcnt lgkmcnt(2)
	v_fma_f64 v[27:28], v[31:32], v[27:28], 0
	v_fma_f64 v[27:28], v[33:34], v[29:30], v[27:28]
	s_waitcnt lgkmcnt(0)
	v_fma_f64 v[14:15], v[14:15], v[35:36], v[27:28]
	ds_write_b64 v16, v[14:15]
.LBB3_35:
	s_or_b64 exec, exec, s[0:1]
	s_waitcnt lgkmcnt(0)
	; wave barrier
	s_and_saveexec_b64 s[0:1], s[8:9]
	s_cbranch_execz .LBB3_37
; %bb.36:
	ds_read2_b64 v[27:30], v21 offset1:4
	ds_read2_b64 v[31:34], v9 offset1:1
	ds_read_b64 v[14:15], v21 offset:64
	ds_read_b64 v[8:9], v9 offset:16
	s_waitcnt lgkmcnt(2)
	v_fma_f64 v[27:28], v[27:28], v[31:32], 0
	v_fma_f64 v[27:28], v[29:30], v[33:34], v[27:28]
	s_waitcnt lgkmcnt(0)
	v_fma_f64 v[8:9], v[14:15], v[8:9], v[27:28]
	ds_write_b64 v20, v[8:9]
.LBB3_37:
	s_or_b64 exec, exec, s[0:1]
	s_waitcnt lgkmcnt(0)
	; wave barrier
	s_and_saveexec_b64 s[0:1], vcc
	s_cbranch_execz .LBB3_39
; %bb.38:
	v_mov_b32_e32 v8, s15
	v_add_co_u32_e32 v9, vcc, s14, v6
	v_addc_co_u32_e32 v8, vcc, v8, v7, vcc
	v_add_co_u32_e32 v9, vcc, v9, v10
	v_addc_co_u32_e32 v8, vcc, v8, v11, vcc
	;; [unrolled: 2-line block ×3, first 2 shown]
	v_mov_b32_e32 v11, s7
	v_add_co_u32_e32 v8, vcc, s6, v9
	v_addc_co_u32_e32 v9, vcc, v10, v11, vcc
	global_load_dwordx2 v[14:15], v[8:9], off
	ds_read2_b64 v[8:11], v18 offset1:16
	ds_read2_b64 v[27:30], v17 offset1:1
	ds_read_b64 v[20:21], v18 offset:256
	s_waitcnt lgkmcnt(1)
	v_fma_f64 v[8:9], v[8:9], v[27:28], 0
	v_fma_f64 v[8:9], v[10:11], v[29:30], v[8:9]
	ds_read_b64 v[10:11], v17 offset:16
	s_waitcnt lgkmcnt(0)
	v_fma_f64 v[8:9], v[20:21], v[10:11], v[8:9]
	s_waitcnt vmcnt(0)
	v_mul_f64 v[8:9], v[14:15], v[8:9]
	ds_write_b64 v19, v[8:9]
.LBB3_39:
	s_or_b64 exec, exec, s[0:1]
	s_waitcnt lgkmcnt(0)
	; wave barrier
	s_and_saveexec_b64 s[0:1], s[20:21]
	s_cbranch_execz .LBB3_41
; %bb.40:
	ds_read_b128 v[8:11], v23
	ds_read_b128 v[14:17], v2
	ds_read_b128 v[18:21], v2 offset:16
	ds_read_b128 v[27:30], v23 offset:16
	s_waitcnt lgkmcnt(2)
	v_fma_f64 v[8:9], v[14:15], v[8:9], 0
	v_fma_f64 v[8:9], v[16:17], v[10:11], v[8:9]
	s_waitcnt lgkmcnt(0)
	v_fma_f64 v[8:9], v[18:19], v[27:28], v[8:9]
	v_fma_f64 v[8:9], v[20:21], v[29:30], v[8:9]
	ds_write_b64 v3, v[8:9]
.LBB3_41:
	s_or_b64 exec, exec, s[0:1]
	s_waitcnt lgkmcnt(0)
	; wave barrier
	s_and_saveexec_b64 s[0:1], s[2:3]
	s_cbranch_execz .LBB3_43
; %bb.42:
	ds_read2_b64 v[8:11], v24 offset1:3
	ds_read_b128 v[14:17], v25
	ds_read_b128 v[18:21], v25 offset:16
	s_waitcnt lgkmcnt(1)
	v_fma_f64 v[2:3], v[8:9], v[14:15], 0
	v_fma_f64 v[2:3], v[10:11], v[16:17], v[2:3]
	ds_read2_b64 v[8:11], v24 offset0:6 offset1:9
	s_waitcnt lgkmcnt(0)
	v_fma_f64 v[2:3], v[8:9], v[18:19], v[2:3]
	v_fma_f64 v[2:3], v[10:11], v[20:21], v[2:3]
	ds_write_b64 v1, v[2:3]
.LBB3_43:
	s_or_b64 exec, exec, s[0:1]
	s_waitcnt lgkmcnt(0)
	; wave barrier
	s_and_saveexec_b64 s[0:1], s[16:17]
	s_cbranch_execz .LBB3_45
; %bb.44:
	ds_read2_b64 v[8:11], v26 offset1:9
	ds_read_b128 v[14:17], v5
	ds_read_b128 v[18:21], v5 offset:16
	v_mov_b32_e32 v3, s11
	v_add_co_u32_e32 v5, vcc, s10, v6
	s_waitcnt lgkmcnt(1)
	v_fma_f64 v[1:2], v[8:9], v[14:15], 0
	v_addc_co_u32_e32 v3, vcc, v3, v7, vcc
	v_add_co_u32_e32 v5, vcc, v5, v12
	v_addc_co_u32_e32 v3, vcc, v3, v0, vcc
	v_fma_f64 v[1:2], v[10:11], v[16:17], v[1:2]
	ds_read2_b64 v[8:11], v26 offset0:18 offset1:27
	s_waitcnt lgkmcnt(0)
	v_fma_f64 v[1:2], v[8:9], v[18:19], v[1:2]
	v_fma_f64 v[0:1], v[10:11], v[20:21], v[1:2]
	v_add_co_u32_e32 v2, vcc, v5, v13
	v_addc_co_u32_e32 v3, vcc, v3, v4, vcc
	v_mov_b32_e32 v4, s22
	v_add_co_u32_e32 v2, vcc, s23, v2
	v_addc_co_u32_e32 v3, vcc, v3, v4, vcc
	global_store_dwordx2 v[2:3], v[0:1], off offset:432
.LBB3_45:
	s_or_b64 exec, exec, s[0:1]
	; wave barrier
.LBB3_46:
	s_endpgm
	.section	.rodata,"a",@progbits
	.p2align	6, 0x0
	.amdhsa_kernel _ZN4RAJA34launch_new_reduce_global_fcn_fixedIZN8rajaperf4apps11MASSVEC3DPA17runHipVariantImplILm64ELm1EEEvNS1_9VariantIDEEUlNS_14LaunchContextTINS_3hip33LaunchContextIndicesAndDimsPolicyINS7_14IndicesAndDimsILb0ELb0ELb0ELb0EEEEEEEE_Li64ENS_4expt15ForallParamPackIJEEEEEvT_T1_
		.amdhsa_group_segment_fixed_size 1216
		.amdhsa_private_segment_fixed_size 0
		.amdhsa_kernarg_size 44
		.amdhsa_user_sgpr_count 6
		.amdhsa_user_sgpr_private_segment_buffer 1
		.amdhsa_user_sgpr_dispatch_ptr 0
		.amdhsa_user_sgpr_queue_ptr 0
		.amdhsa_user_sgpr_kernarg_segment_ptr 1
		.amdhsa_user_sgpr_dispatch_id 0
		.amdhsa_user_sgpr_flat_scratch_init 0
		.amdhsa_user_sgpr_private_segment_size 0
		.amdhsa_uses_dynamic_stack 0
		.amdhsa_system_sgpr_private_segment_wavefront_offset 0
		.amdhsa_system_sgpr_workgroup_id_x 1
		.amdhsa_system_sgpr_workgroup_id_y 0
		.amdhsa_system_sgpr_workgroup_id_z 0
		.amdhsa_system_sgpr_workgroup_info 0
		.amdhsa_system_vgpr_workitem_id 2
		.amdhsa_next_free_vgpr 47
		.amdhsa_next_free_sgpr 25
		.amdhsa_reserve_vcc 1
		.amdhsa_reserve_flat_scratch 0
		.amdhsa_float_round_mode_32 0
		.amdhsa_float_round_mode_16_64 0
		.amdhsa_float_denorm_mode_32 3
		.amdhsa_float_denorm_mode_16_64 3
		.amdhsa_dx10_clamp 1
		.amdhsa_ieee_mode 1
		.amdhsa_fp16_overflow 0
		.amdhsa_exception_fp_ieee_invalid_op 0
		.amdhsa_exception_fp_denorm_src 0
		.amdhsa_exception_fp_ieee_div_zero 0
		.amdhsa_exception_fp_ieee_overflow 0
		.amdhsa_exception_fp_ieee_underflow 0
		.amdhsa_exception_fp_ieee_inexact 0
		.amdhsa_exception_int_div_zero 0
	.end_amdhsa_kernel
	.section	.text._ZN4RAJA34launch_new_reduce_global_fcn_fixedIZN8rajaperf4apps11MASSVEC3DPA17runHipVariantImplILm64ELm1EEEvNS1_9VariantIDEEUlNS_14LaunchContextTINS_3hip33LaunchContextIndicesAndDimsPolicyINS7_14IndicesAndDimsILb0ELb0ELb0ELb0EEEEEEEE_Li64ENS_4expt15ForallParamPackIJEEEEEvT_T1_,"axG",@progbits,_ZN4RAJA34launch_new_reduce_global_fcn_fixedIZN8rajaperf4apps11MASSVEC3DPA17runHipVariantImplILm64ELm1EEEvNS1_9VariantIDEEUlNS_14LaunchContextTINS_3hip33LaunchContextIndicesAndDimsPolicyINS7_14IndicesAndDimsILb0ELb0ELb0ELb0EEEEEEEE_Li64ENS_4expt15ForallParamPackIJEEEEEvT_T1_,comdat
.Lfunc_end3:
	.size	_ZN4RAJA34launch_new_reduce_global_fcn_fixedIZN8rajaperf4apps11MASSVEC3DPA17runHipVariantImplILm64ELm1EEEvNS1_9VariantIDEEUlNS_14LaunchContextTINS_3hip33LaunchContextIndicesAndDimsPolicyINS7_14IndicesAndDimsILb0ELb0ELb0ELb0EEEEEEEE_Li64ENS_4expt15ForallParamPackIJEEEEEvT_T1_, .Lfunc_end3-_ZN4RAJA34launch_new_reduce_global_fcn_fixedIZN8rajaperf4apps11MASSVEC3DPA17runHipVariantImplILm64ELm1EEEvNS1_9VariantIDEEUlNS_14LaunchContextTINS_3hip33LaunchContextIndicesAndDimsPolicyINS7_14IndicesAndDimsILb0ELb0ELb0ELb0EEEEEEEE_Li64ENS_4expt15ForallParamPackIJEEEEEvT_T1_
                                        ; -- End function
	.set _ZN4RAJA34launch_new_reduce_global_fcn_fixedIZN8rajaperf4apps11MASSVEC3DPA17runHipVariantImplILm64ELm1EEEvNS1_9VariantIDEEUlNS_14LaunchContextTINS_3hip33LaunchContextIndicesAndDimsPolicyINS7_14IndicesAndDimsILb0ELb0ELb0ELb0EEEEEEEE_Li64ENS_4expt15ForallParamPackIJEEEEEvT_T1_.num_vgpr, 47
	.set _ZN4RAJA34launch_new_reduce_global_fcn_fixedIZN8rajaperf4apps11MASSVEC3DPA17runHipVariantImplILm64ELm1EEEvNS1_9VariantIDEEUlNS_14LaunchContextTINS_3hip33LaunchContextIndicesAndDimsPolicyINS7_14IndicesAndDimsILb0ELb0ELb0ELb0EEEEEEEE_Li64ENS_4expt15ForallParamPackIJEEEEEvT_T1_.num_agpr, 0
	.set _ZN4RAJA34launch_new_reduce_global_fcn_fixedIZN8rajaperf4apps11MASSVEC3DPA17runHipVariantImplILm64ELm1EEEvNS1_9VariantIDEEUlNS_14LaunchContextTINS_3hip33LaunchContextIndicesAndDimsPolicyINS7_14IndicesAndDimsILb0ELb0ELb0ELb0EEEEEEEE_Li64ENS_4expt15ForallParamPackIJEEEEEvT_T1_.numbered_sgpr, 25
	.set _ZN4RAJA34launch_new_reduce_global_fcn_fixedIZN8rajaperf4apps11MASSVEC3DPA17runHipVariantImplILm64ELm1EEEvNS1_9VariantIDEEUlNS_14LaunchContextTINS_3hip33LaunchContextIndicesAndDimsPolicyINS7_14IndicesAndDimsILb0ELb0ELb0ELb0EEEEEEEE_Li64ENS_4expt15ForallParamPackIJEEEEEvT_T1_.num_named_barrier, 0
	.set _ZN4RAJA34launch_new_reduce_global_fcn_fixedIZN8rajaperf4apps11MASSVEC3DPA17runHipVariantImplILm64ELm1EEEvNS1_9VariantIDEEUlNS_14LaunchContextTINS_3hip33LaunchContextIndicesAndDimsPolicyINS7_14IndicesAndDimsILb0ELb0ELb0ELb0EEEEEEEE_Li64ENS_4expt15ForallParamPackIJEEEEEvT_T1_.private_seg_size, 0
	.set _ZN4RAJA34launch_new_reduce_global_fcn_fixedIZN8rajaperf4apps11MASSVEC3DPA17runHipVariantImplILm64ELm1EEEvNS1_9VariantIDEEUlNS_14LaunchContextTINS_3hip33LaunchContextIndicesAndDimsPolicyINS7_14IndicesAndDimsILb0ELb0ELb0ELb0EEEEEEEE_Li64ENS_4expt15ForallParamPackIJEEEEEvT_T1_.uses_vcc, 1
	.set _ZN4RAJA34launch_new_reduce_global_fcn_fixedIZN8rajaperf4apps11MASSVEC3DPA17runHipVariantImplILm64ELm1EEEvNS1_9VariantIDEEUlNS_14LaunchContextTINS_3hip33LaunchContextIndicesAndDimsPolicyINS7_14IndicesAndDimsILb0ELb0ELb0ELb0EEEEEEEE_Li64ENS_4expt15ForallParamPackIJEEEEEvT_T1_.uses_flat_scratch, 0
	.set _ZN4RAJA34launch_new_reduce_global_fcn_fixedIZN8rajaperf4apps11MASSVEC3DPA17runHipVariantImplILm64ELm1EEEvNS1_9VariantIDEEUlNS_14LaunchContextTINS_3hip33LaunchContextIndicesAndDimsPolicyINS7_14IndicesAndDimsILb0ELb0ELb0ELb0EEEEEEEE_Li64ENS_4expt15ForallParamPackIJEEEEEvT_T1_.has_dyn_sized_stack, 0
	.set _ZN4RAJA34launch_new_reduce_global_fcn_fixedIZN8rajaperf4apps11MASSVEC3DPA17runHipVariantImplILm64ELm1EEEvNS1_9VariantIDEEUlNS_14LaunchContextTINS_3hip33LaunchContextIndicesAndDimsPolicyINS7_14IndicesAndDimsILb0ELb0ELb0ELb0EEEEEEEE_Li64ENS_4expt15ForallParamPackIJEEEEEvT_T1_.has_recursion, 0
	.set _ZN4RAJA34launch_new_reduce_global_fcn_fixedIZN8rajaperf4apps11MASSVEC3DPA17runHipVariantImplILm64ELm1EEEvNS1_9VariantIDEEUlNS_14LaunchContextTINS_3hip33LaunchContextIndicesAndDimsPolicyINS7_14IndicesAndDimsILb0ELb0ELb0ELb0EEEEEEEE_Li64ENS_4expt15ForallParamPackIJEEEEEvT_T1_.has_indirect_call, 0
	.section	.AMDGPU.csdata,"",@progbits
; Kernel info:
; codeLenInByte = 2992
; TotalNumSgprs: 29
; NumVgprs: 47
; ScratchSize: 0
; MemoryBound: 0
; FloatMode: 240
; IeeeMode: 1
; LDSByteSize: 1216 bytes/workgroup (compile time only)
; SGPRBlocks: 3
; VGPRBlocks: 11
; NumSGPRsForWavesPerEU: 29
; NumVGPRsForWavesPerEU: 47
; Occupancy: 5
; WaveLimiterHint : 0
; COMPUTE_PGM_RSRC2:SCRATCH_EN: 0
; COMPUTE_PGM_RSRC2:USER_SGPR: 6
; COMPUTE_PGM_RSRC2:TRAP_HANDLER: 0
; COMPUTE_PGM_RSRC2:TGID_X_EN: 1
; COMPUTE_PGM_RSRC2:TGID_Y_EN: 0
; COMPUTE_PGM_RSRC2:TGID_Z_EN: 0
; COMPUTE_PGM_RSRC2:TIDIG_COMP_CNT: 2
	.section	.text._ZN4RAJA34launch_new_reduce_global_fcn_fixedIZN8rajaperf4apps11MASSVEC3DPA17runHipVariantImplILm64ELm2EEEvNS1_9VariantIDEEUlNS_14LaunchContextTINS_3hip33LaunchContextIndicesAndDimsPolicyINS7_14IndicesAndDimsILb0ELb0ELb1ELb0EEEEEEEE_Li64ENS_4expt15ForallParamPackIJEEEEEvT_T1_,"axG",@progbits,_ZN4RAJA34launch_new_reduce_global_fcn_fixedIZN8rajaperf4apps11MASSVEC3DPA17runHipVariantImplILm64ELm2EEEvNS1_9VariantIDEEUlNS_14LaunchContextTINS_3hip33LaunchContextIndicesAndDimsPolicyINS7_14IndicesAndDimsILb0ELb0ELb1ELb0EEEEEEEE_Li64ENS_4expt15ForallParamPackIJEEEEEvT_T1_,comdat
	.protected	_ZN4RAJA34launch_new_reduce_global_fcn_fixedIZN8rajaperf4apps11MASSVEC3DPA17runHipVariantImplILm64ELm2EEEvNS1_9VariantIDEEUlNS_14LaunchContextTINS_3hip33LaunchContextIndicesAndDimsPolicyINS7_14IndicesAndDimsILb0ELb0ELb1ELb0EEEEEEEE_Li64ENS_4expt15ForallParamPackIJEEEEEvT_T1_ ; -- Begin function _ZN4RAJA34launch_new_reduce_global_fcn_fixedIZN8rajaperf4apps11MASSVEC3DPA17runHipVariantImplILm64ELm2EEEvNS1_9VariantIDEEUlNS_14LaunchContextTINS_3hip33LaunchContextIndicesAndDimsPolicyINS7_14IndicesAndDimsILb0ELb0ELb1ELb0EEEEEEEE_Li64ENS_4expt15ForallParamPackIJEEEEEvT_T1_
	.globl	_ZN4RAJA34launch_new_reduce_global_fcn_fixedIZN8rajaperf4apps11MASSVEC3DPA17runHipVariantImplILm64ELm2EEEvNS1_9VariantIDEEUlNS_14LaunchContextTINS_3hip33LaunchContextIndicesAndDimsPolicyINS7_14IndicesAndDimsILb0ELb0ELb1ELb0EEEEEEEE_Li64ENS_4expt15ForallParamPackIJEEEEEvT_T1_
	.p2align	8
	.type	_ZN4RAJA34launch_new_reduce_global_fcn_fixedIZN8rajaperf4apps11MASSVEC3DPA17runHipVariantImplILm64ELm2EEEvNS1_9VariantIDEEUlNS_14LaunchContextTINS_3hip33LaunchContextIndicesAndDimsPolicyINS7_14IndicesAndDimsILb0ELb0ELb1ELb0EEEEEEEE_Li64ENS_4expt15ForallParamPackIJEEEEEvT_T1_,@function
_ZN4RAJA34launch_new_reduce_global_fcn_fixedIZN8rajaperf4apps11MASSVEC3DPA17runHipVariantImplILm64ELm2EEEvNS1_9VariantIDEEUlNS_14LaunchContextTINS_3hip33LaunchContextIndicesAndDimsPolicyINS7_14IndicesAndDimsILb0ELb0ELb1ELb0EEEEEEEE_Li64ENS_4expt15ForallParamPackIJEEEEEvT_T1_: ; @_ZN4RAJA34launch_new_reduce_global_fcn_fixedIZN8rajaperf4apps11MASSVEC3DPA17runHipVariantImplILm64ELm2EEEvNS1_9VariantIDEEUlNS_14LaunchContextTINS_3hip33LaunchContextIndicesAndDimsPolicyINS7_14IndicesAndDimsILb0ELb0ELb1ELb0EEEEEEEE_Li64ENS_4expt15ForallParamPackIJEEEEEvT_T1_
; %bb.0:
	s_load_dwordx8 s[12:19], s[4:5], 0x0
	s_mov_b32 s7, 0
	v_mov_b32_e32 v5, s6
	v_mov_b32_e32 v6, s7
	s_waitcnt lgkmcnt(0)
	v_cmp_le_i64_e32 vcc, s[12:13], v[5:6]
	s_cbranch_vccnz .LBB4_78
; %bb.1:
	s_load_dwordx2 s[0:1], s[4:5], 0x3c
	s_load_dwordx2 s[20:21], s[4:5], 0x20
	v_mov_b32_e32 v4, v1
	v_cmp_ne_u32_e32 vcc, 0, v2
	v_lshlrev_b32_e32 v25, 3, v0
	s_waitcnt lgkmcnt(0)
	s_lshr_b32 s4, s0, 16
	s_and_b32 s8, s0, 0xffff
	v_lshlrev_b32_e32 v26, 5, v4
                                        ; implicit-def: $vgpr14_vgpr15
                                        ; implicit-def: $vgpr16_vgpr17
                                        ; implicit-def: $vgpr18_vgpr19
                                        ; implicit-def: $vgpr20_vgpr21
	s_and_saveexec_b64 s[2:3], vcc
	s_xor_b64 s[2:3], exec, s[2:3]
                                        ; implicit-def: $vgpr27
                                        ; implicit-def: $vgpr28
	s_cbranch_execz .LBB4_3
; %bb.2:
	s_mov_b32 s5, 0
	s_mov_b32 s9, s5
	;; [unrolled: 1-line block ×4, first 2 shown]
	v_mov_b32_e32 v5, 0
	s_lshl_b32 s10, s8, 3
	s_lshl_b32 s12, s4, 5
	v_mov_b32_e32 v21, s13
	v_mov_b32_e32 v19, s11
	;; [unrolled: 1-line block ×11, first 2 shown]
.LBB4_3:
	s_or_saveexec_b64 s[10:11], s[2:3]
	s_and_b32 s33, s1, 0xffff
	s_xor_b64 exec, exec, s[10:11]
	s_cbranch_execz .LBB4_13
; %bb.4:
	v_add_co_u32_e32 v3, vcc, v26, v25
	v_addc_co_u32_e64 v7, s[22:23], 0, 0, vcc
	v_mov_b32_e32 v8, s15
	v_add_co_u32_e32 v6, vcc, s14, v3
	s_movk_i32 s24, 0x460
	s_mov_b32 s5, 0
	v_mov_b32_e32 v5, 0
	s_cmp_lg_u32 s33, 0
	v_addc_co_u32_e32 v7, vcc, v8, v7, vcc
	v_add3_u32 v3, v26, v25, s24
	v_mul_u32_u24_e32 v8, 24, v0
	v_lshlrev_b32_e32 v9, 3, v4
	s_movk_i32 s24, 0x400
	v_cmp_gt_u32_e64 s[0:1], 3, v4
	v_cmp_gt_u32_e64 s[2:3], 4, v0
	v_mov_b32_e32 v1, v5
	s_cselect_b64 s[12:13], -1, 0
	s_mov_b32 s9, s5
	v_mov_b32_e32 v28, v5
	v_mov_b32_e32 v27, v5
	s_lshl_b32 s14, s4, 5
	s_mov_b32 s15, s5
	s_lshl_b32 s22, s8, 3
	s_mov_b32 s23, s5
	v_add3_u32 v16, v8, v9, s24
	s_lshl_b32 s34, s4, 3
	s_mul_i32 s35, s8, 24
	s_branch .LBB4_6
.LBB4_5:                                ;   in Loop: Header=BB4_6 Depth=1
	s_or_b64 exec, exec, s[24:25]
	s_andn2_b64 vcc, exec, s[12:13]
	s_cbranch_vccz .LBB4_12
.LBB4_6:                                ; =>This Loop Header: Depth=1
                                        ;     Child Loop BB4_9 Depth 2
                                        ;       Child Loop BB4_11 Depth 3
	s_and_saveexec_b64 s[24:25], s[0:1]
	s_cbranch_execz .LBB4_5
; %bb.7:                                ;   in Loop: Header=BB4_6 Depth=1
	v_mov_b32_e32 v9, v7
	v_mov_b32_e32 v11, v5
	s_mov_b64 s[26:27], 0
	v_mov_b32_e32 v17, v16
	v_mov_b32_e32 v18, v3
	;; [unrolled: 1-line block ×4, first 2 shown]
	s_branch .LBB4_9
.LBB4_8:                                ;   in Loop: Header=BB4_9 Depth=2
	s_or_b64 exec, exec, s[28:29]
	v_add_co_u32_e32 v10, vcc, s4, v10
	v_addc_co_u32_e32 v11, vcc, 0, v11, vcc
	v_add_co_u32_e32 v8, vcc, s14, v8
	v_addc_co_u32_e32 v9, vcc, 0, v9, vcc
	v_cmp_lt_u64_e32 vcc, 2, v[10:11]
	v_add_u32_e32 v18, s14, v18
	s_or_b64 s[26:27], vcc, s[26:27]
	v_add_u32_e32 v17, s34, v17
	s_andn2_b64 exec, exec, s[26:27]
	s_cbranch_execz .LBB4_5
.LBB4_9:                                ;   Parent Loop BB4_6 Depth=1
                                        ; =>  This Loop Header: Depth=2
                                        ;       Child Loop BB4_11 Depth 3
	s_and_saveexec_b64 s[28:29], s[2:3]
	s_cbranch_execz .LBB4_8
; %bb.10:                               ;   in Loop: Header=BB4_9 Depth=2
	v_mov_b32_e32 v13, v9
	v_mov_b32_e32 v15, v1
	s_mov_b64 s[30:31], 0
	v_mov_b32_e32 v19, v17
	v_mov_b32_e32 v20, v18
	;; [unrolled: 1-line block ×4, first 2 shown]
.LBB4_11:                               ;   Parent Loop BB4_6 Depth=1
                                        ;     Parent Loop BB4_9 Depth=2
                                        ; =>    This Inner Loop Header: Depth=3
	global_load_dwordx2 v[21:22], v[12:13], off
	v_add_co_u32_e32 v14, vcc, s8, v14
	v_addc_co_u32_e32 v15, vcc, 0, v15, vcc
	v_add_co_u32_e32 v12, vcc, s22, v12
	v_addc_co_u32_e32 v13, vcc, 0, v13, vcc
	v_cmp_lt_u64_e32 vcc, 3, v[14:15]
	s_waitcnt vmcnt(0)
	ds_write_b64 v19, v[21:22]
	ds_write_b64 v20, v[21:22]
	s_or_b64 s[30:31], vcc, s[30:31]
	v_add_u32_e32 v20, s22, v20
	v_add_u32_e32 v19, s35, v19
	s_andn2_b64 exec, exec, s[30:31]
	s_cbranch_execnz .LBB4_11
	s_branch .LBB4_8
.LBB4_12:
	v_mov_b32_e32 v15, s5
	v_mov_b32_e32 v17, s9
	;; [unrolled: 1-line block ×8, first 2 shown]
.LBB4_13:
	s_or_b64 exec, exec, s[10:11]
	v_mul_hi_u32_u24_e32 v7, 0x48, v2
	v_mul_u32_u24_e32 v6, 0x48, v2
	v_mov_b32_e32 v8, 0x288
	v_mad_u64_u32 v[6:7], s[8:9], s6, v8, v[6:7]
	v_mad_u64_u32 v[22:23], s[14:15], v14, 24, 0
	;; [unrolled: 1-line block ×3, first 2 shown]
	v_mov_b32_e32 v10, s17
	s_lshl_b64 s[6:7], s[6:7], 9
	v_mad_u64_u32 v[7:8], s[14:15], v5, 24, v[7:8]
	v_add_co_u32_e32 v8, vcc, v6, v25
	v_mov_b32_e32 v6, v23
	v_addc_co_u32_e32 v9, vcc, v7, v27, vcc
	v_mad_u64_u32 v[6:7], s[14:15], v15, 24, v[6:7]
	v_add_co_u32_e32 v23, vcc, s16, v8
	v_addc_co_u32_e32 v24, vcc, v10, v9, vcc
	v_mov_b32_e32 v44, v6
	v_lshlrev_b32_e32 v6, 7, v2
	v_mov_b32_e32 v7, s7
	v_add_co_u32_e32 v10, vcc, s6, v6
	v_addc_co_u32_e32 v7, vcc, 0, v7, vcc
	v_add_co_u32_e32 v10, vcc, v10, v26
	v_addc_co_u32_e32 v7, vcc, v7, v28, vcc
	;; [unrolled: 2-line block ×3, first 2 shown]
	v_mul_lo_u32 v11, v4, 24
	v_mov_b32_e32 v13, s19
	v_add_co_u32_e32 v25, vcc, s18, v10
	v_lshlrev_b32_e32 v12, 3, v0
	v_addc_co_u32_e32 v26, vcc, v13, v7, vcc
	s_movk_i32 s6, 0x60
	v_mov_b32_e32 v29, 0x400
	v_add_co_u32_e32 v27, vcc, s20, v8
	v_lshlrev_b32_e32 v8, 5, v4
	s_movk_i32 s7, 0x200
	v_mad_u32_u24 v45, v2, s6, v12
	v_mov_b32_e32 v30, 0
	v_mov_b32_e32 v7, s21
	v_add3_u32 v47, v45, v8, s7
	v_mul_lo_u32 v54, v16, 24
	v_mad_u64_u32 v[31:32], s[6:7], v0, 24, v[29:30]
	s_movk_i32 s26, 0x48
	v_addc_co_u32_e32 v28, vcc, v7, v9, vcc
	v_add_u32_e32 v7, v11, v12
	v_add_u32_e32 v46, v8, v12
	;; [unrolled: 1-line block ×3, first 2 shown]
	v_mad_u32_u24 v50, v2, s26, v7
	v_mov_b32_e32 v57, 0x460
	v_mov_b32_e32 v3, 0
	v_cmp_gt_u32_e64 s[0:1], 3, v2
	v_cmp_gt_u32_e64 s[2:3], 4, v2
	;; [unrolled: 1-line block ×6, first 2 shown]
	s_mul_i32 s27, s33, 0x48
	s_mul_i32 s28, s33, 0x60
	s_lshl_b32 s29, s33, 7
	v_add_u32_e32 v49, v45, v11
	v_add_u32_e32 v51, 0x200, v7
	s_mov_b64 s[14:15], 0
	v_lshlrev_b32_e32 v52, 3, v16
	v_lshlrev_b32_e32 v53, 5, v14
	v_add_u32_e32 v55, 0x200, v45
	v_add_u32_e32 v56, 0x200, v48
	v_lshl_add_u32 v58, v0, 5, v57
	v_lshlrev_b32_e32 v59, 5, v16
	v_add_u32_e32 v60, 0x200, v50
	v_mov_b32_e32 v61, 0x200
	s_branch .LBB4_15
.LBB4_14:                               ;   in Loop: Header=BB4_15 Depth=1
	s_or_b64 exec, exec, s[16:17]
	v_add_co_u32_e32 v23, vcc, 0xd8, v23
	s_add_u32 s14, s14, 1
	v_addc_co_u32_e32 v24, vcc, 0, v24, vcc
	s_addc_u32 s15, s15, 0
	v_add_co_u32_e32 v27, vcc, 0xd8, v27
	s_cmp_lg_u64 s[14:15], 3
	v_addc_co_u32_e32 v28, vcc, 0, v28, vcc
	; wave barrier
	s_cbranch_scc0 .LBB4_78
.LBB4_15:                               ; =>This Loop Header: Depth=1
                                        ;     Child Loop BB4_18 Depth 2
                                        ;       Child Loop BB4_21 Depth 3
                                        ;         Child Loop BB4_23 Depth 4
                                        ;     Child Loop BB4_27 Depth 2
                                        ;       Child Loop BB4_30 Depth 3
                                        ;         Child Loop BB4_32 Depth 4
	;; [unrolled: 3-line block ×7, first 2 shown]
	s_and_saveexec_b64 s[16:17], s[0:1]
	s_cbranch_execz .LBB4_24
; %bb.16:                               ;   in Loop: Header=BB4_15 Depth=1
	v_mov_b32_e32 v6, v23
	v_mov_b32_e32 v9, v3
	s_mov_b64 s[18:19], 0
	v_mov_b32_e32 v36, v50
	v_mov_b32_e32 v7, v24
	;; [unrolled: 1-line block ×3, first 2 shown]
	s_branch .LBB4_18
.LBB4_17:                               ;   in Loop: Header=BB4_18 Depth=2
	s_or_b64 exec, exec, s[20:21]
	v_add_co_u32_e32 v8, vcc, s33, v8
	v_addc_co_u32_e32 v9, vcc, 0, v9, vcc
	v_cmp_lt_u64_e32 vcc, 2, v[8:9]
	v_add_co_u32_e64 v6, s[6:7], s27, v6
	v_addc_co_u32_e64 v7, s[6:7], 0, v7, s[6:7]
	s_or_b64 s[18:19], vcc, s[18:19]
	v_add_u32_e32 v36, s27, v36
	s_andn2_b64 exec, exec, s[18:19]
	s_cbranch_execz .LBB4_24
.LBB4_18:                               ;   Parent Loop BB4_15 Depth=1
                                        ; =>  This Loop Header: Depth=2
                                        ;       Child Loop BB4_21 Depth 3
                                        ;         Child Loop BB4_23 Depth 4
	s_and_saveexec_b64 s[20:21], s[4:5]
	s_cbranch_execz .LBB4_17
; %bb.19:                               ;   in Loop: Header=BB4_18 Depth=2
	v_mov_b32_e32 v11, v7
	v_mov_b32_e32 v13, v5
	s_mov_b64 s[22:23], 0
	v_mov_b32_e32 v37, v36
	v_mov_b32_e32 v10, v6
	;; [unrolled: 1-line block ×3, first 2 shown]
	s_branch .LBB4_21
.LBB4_20:                               ;   in Loop: Header=BB4_21 Depth=3
	s_or_b64 exec, exec, s[6:7]
	v_add_co_u32_e32 v12, vcc, v12, v14
	v_addc_co_u32_e32 v13, vcc, v13, v15, vcc
	v_cmp_lt_u64_e32 vcc, 2, v[12:13]
	v_add_co_u32_e64 v10, s[6:7], v10, v22
	v_addc_co_u32_e64 v11, s[6:7], v11, v44, s[6:7]
	s_or_b64 s[22:23], vcc, s[22:23]
	v_add_u32_e32 v37, v37, v22
	s_andn2_b64 exec, exec, s[22:23]
	s_cbranch_execz .LBB4_17
.LBB4_21:                               ;   Parent Loop BB4_15 Depth=1
                                        ;     Parent Loop BB4_18 Depth=2
                                        ; =>    This Loop Header: Depth=3
                                        ;         Child Loop BB4_23 Depth 4
	s_and_saveexec_b64 s[6:7], s[12:13]
	s_cbranch_execz .LBB4_20
; %bb.22:                               ;   in Loop: Header=BB4_21 Depth=3
	v_mov_b32_e32 v33, v11
	v_mov_b32_e32 v35, v1
	s_mov_b64 s[24:25], 0
	v_mov_b32_e32 v38, v37
	v_mov_b32_e32 v32, v10
	;; [unrolled: 1-line block ×3, first 2 shown]
.LBB4_23:                               ;   Parent Loop BB4_15 Depth=1
                                        ;     Parent Loop BB4_18 Depth=2
                                        ;       Parent Loop BB4_21 Depth=3
                                        ; =>      This Inner Loop Header: Depth=4
	global_load_dwordx2 v[39:40], v[32:33], off
	v_add_co_u32_e32 v34, vcc, v34, v16
	v_addc_co_u32_e32 v35, vcc, v35, v17, vcc
	v_add_co_u32_e32 v32, vcc, v32, v18
	v_addc_co_u32_e32 v33, vcc, v33, v19, vcc
	v_cmp_lt_u64_e32 vcc, 2, v[34:35]
	s_or_b64 s[24:25], vcc, s[24:25]
	s_waitcnt vmcnt(0)
	ds_write_b64 v38, v[39:40]
	v_add_u32_e32 v38, v38, v52
	s_andn2_b64 exec, exec, s[24:25]
	s_cbranch_execnz .LBB4_23
	s_branch .LBB4_20
.LBB4_24:                               ;   in Loop: Header=BB4_15 Depth=1
	s_or_b64 exec, exec, s[16:17]
	s_waitcnt lgkmcnt(0)
	; wave barrier
	s_and_saveexec_b64 s[6:7], s[0:1]
	s_cbranch_execz .LBB4_33
; %bb.25:                               ;   in Loop: Header=BB4_15 Depth=1
	v_mov_b32_e32 v11, v3
	s_mov_b64 s[16:17], 0
	v_mov_b32_e32 v13, v47
	v_mov_b32_e32 v10, v2
	s_branch .LBB4_27
.LBB4_26:                               ;   in Loop: Header=BB4_27 Depth=2
	s_or_b64 exec, exec, s[18:19]
	v_add_co_u32_e32 v10, vcc, s33, v10
	v_addc_co_u32_e32 v11, vcc, 0, v11, vcc
	v_cmp_lt_u64_e32 vcc, 2, v[10:11]
	v_add_u32_e32 v13, s28, v13
	s_or_b64 s[16:17], vcc, s[16:17]
	s_andn2_b64 exec, exec, s[16:17]
	s_cbranch_execz .LBB4_33
.LBB4_27:                               ;   Parent Loop BB4_15 Depth=1
                                        ; =>  This Loop Header: Depth=2
                                        ;       Child Loop BB4_30 Depth 3
                                        ;         Child Loop BB4_32 Depth 4
	s_and_saveexec_b64 s[18:19], s[4:5]
	s_cbranch_execz .LBB4_26
; %bb.28:                               ;   in Loop: Header=BB4_27 Depth=2
	v_mul_lo_u32 v12, v10, s26
	v_mov_b32_e32 v33, v5
	s_mov_b64 s[20:21], 0
	v_mov_b32_e32 v38, v13
	v_mov_b32_e32 v32, v4
	s_branch .LBB4_30
.LBB4_29:                               ;   in Loop: Header=BB4_30 Depth=3
	s_or_b64 exec, exec, s[22:23]
	v_add_co_u32_e32 v32, vcc, v32, v14
	v_addc_co_u32_e32 v33, vcc, v33, v15, vcc
	v_cmp_lt_u64_e32 vcc, 2, v[32:33]
	v_add_u32_e32 v38, v38, v53
	s_or_b64 s[20:21], vcc, s[20:21]
	s_andn2_b64 exec, exec, s[20:21]
	s_cbranch_execz .LBB4_26
.LBB4_30:                               ;   Parent Loop BB4_15 Depth=1
                                        ;     Parent Loop BB4_27 Depth=2
                                        ; =>    This Loop Header: Depth=3
                                        ;         Child Loop BB4_32 Depth 4
	s_and_saveexec_b64 s[22:23], s[8:9]
	s_cbranch_execz .LBB4_29
; %bb.31:                               ;   in Loop: Header=BB4_30 Depth=3
	v_mad_u64_u32 v[34:35], s[24:25], v32, 24, v[12:13]
	v_mov_b32_e32 v37, v1
	s_mov_b64 s[24:25], 0
	ds_read2_b64 v[6:9], v34 offset1:1
	ds_read_b64 v[34:35], v34 offset:16
	v_mov_b32_e32 v39, v31
	v_mov_b32_e32 v40, v38
	;; [unrolled: 1-line block ×3, first 2 shown]
.LBB4_32:                               ;   Parent Loop BB4_15 Depth=1
                                        ;     Parent Loop BB4_27 Depth=2
                                        ;       Parent Loop BB4_30 Depth=3
                                        ; =>      This Inner Loop Header: Depth=4
	ds_read2_b64 v[62:65], v39 offset1:1
	v_add_co_u32_e32 v36, vcc, v36, v16
	v_addc_co_u32_e32 v37, vcc, v37, v17, vcc
	s_waitcnt lgkmcnt(0)
	v_fma_f64 v[41:42], v[6:7], v[62:63], 0
	ds_read_b64 v[62:63], v39 offset:16
	v_cmp_lt_u64_e32 vcc, 3, v[36:37]
	v_add_u32_e32 v39, v39, v54
	s_or_b64 s[24:25], vcc, s[24:25]
	v_fma_f64 v[41:42], v[8:9], v[64:65], v[41:42]
	s_waitcnt lgkmcnt(0)
	v_fma_f64 v[41:42], v[34:35], v[62:63], v[41:42]
	ds_write_b64 v40, v[41:42]
	v_add_u32_e32 v40, v40, v52
	s_andn2_b64 exec, exec, s[24:25]
	s_cbranch_execnz .LBB4_32
	s_branch .LBB4_29
.LBB4_33:                               ;   in Loop: Header=BB4_15 Depth=1
	s_or_b64 exec, exec, s[6:7]
	s_waitcnt lgkmcnt(0)
	; wave barrier
	s_and_saveexec_b64 s[6:7], s[0:1]
	s_cbranch_execz .LBB4_42
; %bb.34:                               ;   in Loop: Header=BB4_15 Depth=1
	v_mov_b32_e32 v11, v3
	s_mov_b64 s[16:17], 0
	v_mov_b32_e32 v36, v55
	v_mov_b32_e32 v37, v48
	;; [unrolled: 1-line block ×3, first 2 shown]
	s_branch .LBB4_36
.LBB4_35:                               ;   in Loop: Header=BB4_36 Depth=2
	s_or_b64 exec, exec, s[18:19]
	v_add_co_u32_e32 v10, vcc, s33, v10
	v_addc_co_u32_e32 v11, vcc, 0, v11, vcc
	v_cmp_lt_u64_e32 vcc, 2, v[10:11]
	v_add_u32_e32 v37, s29, v37
	s_or_b64 s[16:17], vcc, s[16:17]
	v_add_u32_e32 v36, s28, v36
	s_andn2_b64 exec, exec, s[16:17]
	s_cbranch_execz .LBB4_42
.LBB4_36:                               ;   Parent Loop BB4_15 Depth=1
                                        ; =>  This Loop Header: Depth=2
                                        ;       Child Loop BB4_39 Depth 3
                                        ;         Child Loop BB4_41 Depth 4
	s_and_saveexec_b64 s[18:19], s[10:11]
	s_cbranch_execz .LBB4_35
; %bb.37:                               ;   in Loop: Header=BB4_36 Depth=2
	v_mov_b32_e32 v13, v5
	s_mov_b64 s[20:21], 0
	v_mov_b32_e32 v38, v37
	v_mov_b32_e32 v12, v4
	s_branch .LBB4_39
.LBB4_38:                               ;   in Loop: Header=BB4_39 Depth=3
	s_or_b64 exec, exec, s[22:23]
	v_add_co_u32_e32 v12, vcc, v12, v14
	v_addc_co_u32_e32 v13, vcc, v13, v15, vcc
	v_cmp_lt_u64_e32 vcc, 3, v[12:13]
	v_add_u32_e32 v38, v38, v53
	s_or_b64 s[20:21], vcc, s[20:21]
	s_andn2_b64 exec, exec, s[20:21]
	s_cbranch_execz .LBB4_35
.LBB4_39:                               ;   Parent Loop BB4_15 Depth=1
                                        ;     Parent Loop BB4_36 Depth=2
                                        ; =>    This Loop Header: Depth=3
                                        ;         Child Loop BB4_41 Depth 4
	s_and_saveexec_b64 s[22:23], s[8:9]
	s_cbranch_execz .LBB4_38
; %bb.40:                               ;   in Loop: Header=BB4_39 Depth=3
	v_mul_lo_u32 v32, v12, 24
	v_mov_b32_e32 v35, v1
	v_mov_b32_e32 v39, 0
	s_mov_b64 s[24:25], 0
	ds_read2_b64 v[6:9], v32 offset0:128 offset1:129
	ds_read_b64 v[32:33], v32 offset:1040
	v_mov_b32_e32 v34, v0
.LBB4_41:                               ;   Parent Loop BB4_15 Depth=1
                                        ;     Parent Loop BB4_36 Depth=2
                                        ;       Parent Loop BB4_39 Depth=3
                                        ; =>      This Inner Loop Header: Depth=4
	v_add_u32_e32 v62, v36, v39
	ds_read2_b64 v[40:43], v62 offset1:4
	v_add_co_u32_e32 v34, vcc, v34, v16
	v_addc_co_u32_e32 v35, vcc, v35, v17, vcc
	s_waitcnt lgkmcnt(0)
	v_fma_f64 v[40:41], v[6:7], v[40:41], 0
	v_cmp_lt_u64_e32 vcc, 3, v[34:35]
	s_or_b64 s[24:25], vcc, s[24:25]
	v_fma_f64 v[40:41], v[8:9], v[42:43], v[40:41]
	ds_read_b64 v[42:43], v62 offset:64
	v_add_u32_e32 v62, v38, v39
	v_add_u32_e32 v39, v39, v52
	s_waitcnt lgkmcnt(0)
	v_fma_f64 v[40:41], v[32:33], v[42:43], v[40:41]
	ds_write_b64 v62, v[40:41]
	s_andn2_b64 exec, exec, s[24:25]
	s_cbranch_execnz .LBB4_41
	s_branch .LBB4_38
.LBB4_42:                               ;   in Loop: Header=BB4_15 Depth=1
	s_or_b64 exec, exec, s[6:7]
	s_waitcnt lgkmcnt(0)
	; wave barrier
	s_and_saveexec_b64 s[16:17], s[2:3]
	s_cbranch_execz .LBB4_51
; %bb.43:                               ;   in Loop: Header=BB4_15 Depth=1
	v_mov_b32_e32 v10, v25
	v_mov_b32_e32 v13, v3
	s_mov_b64 s[18:19], 0
	v_mov_b32_e32 v43, v56
	v_mov_b32_e32 v11, v26
	;; [unrolled: 1-line block ×3, first 2 shown]
	s_branch .LBB4_45
.LBB4_44:                               ;   in Loop: Header=BB4_45 Depth=2
	s_or_b64 exec, exec, s[6:7]
	v_add_co_u32_e32 v12, vcc, s33, v12
	v_addc_co_u32_e32 v13, vcc, 0, v13, vcc
	v_cmp_lt_u64_e32 vcc, 3, v[12:13]
	v_add_co_u32_e64 v10, s[6:7], s29, v10
	v_addc_co_u32_e64 v11, s[6:7], 0, v11, s[6:7]
	s_or_b64 s[18:19], vcc, s[18:19]
	v_add_u32_e32 v43, s29, v43
	s_andn2_b64 exec, exec, s[18:19]
	s_cbranch_execz .LBB4_51
.LBB4_45:                               ;   Parent Loop BB4_15 Depth=1
                                        ; =>  This Loop Header: Depth=2
                                        ;       Child Loop BB4_48 Depth 3
                                        ;         Child Loop BB4_50 Depth 4
	s_and_saveexec_b64 s[6:7], s[10:11]
	s_cbranch_execz .LBB4_44
; %bb.46:                               ;   in Loop: Header=BB4_45 Depth=2
	v_mad_u64_u32 v[32:33], s[20:21], v12, 24, v[29:30]
	v_mov_b32_e32 v34, v11
	v_mov_b32_e32 v36, v5
	s_mov_b64 s[20:21], 0
	v_mov_b32_e32 v62, v46
	v_mov_b32_e32 v63, v43
	;; [unrolled: 1-line block ×4, first 2 shown]
	s_branch .LBB4_48
.LBB4_47:                               ;   in Loop: Header=BB4_48 Depth=3
	s_or_b64 exec, exec, s[22:23]
	v_add_co_u32_e32 v35, vcc, v35, v14
	v_addc_co_u32_e32 v36, vcc, v36, v15, vcc
	v_add_co_u32_e32 v33, vcc, v33, v20
	v_addc_co_u32_e32 v34, vcc, v34, v21, vcc
	v_cmp_lt_u64_e32 vcc, 3, v[35:36]
	v_add_u32_e32 v63, v63, v53
	s_or_b64 s[20:21], vcc, s[20:21]
	v_add_u32_e32 v62, v62, v53
	s_andn2_b64 exec, exec, s[20:21]
	s_cbranch_execz .LBB4_44
.LBB4_48:                               ;   Parent Loop BB4_15 Depth=1
                                        ;     Parent Loop BB4_45 Depth=2
                                        ; =>    This Loop Header: Depth=3
                                        ;         Child Loop BB4_50 Depth 4
	s_and_saveexec_b64 s[22:23], s[8:9]
	s_cbranch_execz .LBB4_47
; %bb.49:                               ;   in Loop: Header=BB4_48 Depth=3
	ds_read2_b64 v[6:9], v32 offset1:1
	ds_read_b64 v[37:38], v32 offset:16
	v_mov_b32_e32 v40, v34
	v_mov_b32_e32 v42, v1
	;; [unrolled: 1-line block ×3, first 2 shown]
	s_mov_b64 s[24:25], 0
	v_mov_b32_e32 v39, v33
	v_mov_b32_e32 v41, v0
.LBB4_50:                               ;   Parent Loop BB4_15 Depth=1
                                        ;     Parent Loop BB4_45 Depth=2
                                        ;       Parent Loop BB4_48 Depth=3
                                        ; =>      This Inner Loop Header: Depth=4
	global_load_dwordx2 v[69:70], v[39:40], off
	v_add_u32_e32 v71, v62, v64
	ds_read2_b64 v[65:68], v71 offset1:16
	v_add_co_u32_e32 v41, vcc, v41, v16
	v_addc_co_u32_e32 v42, vcc, v42, v17, vcc
	s_waitcnt lgkmcnt(0)
	v_fma_f64 v[65:66], v[6:7], v[65:66], 0
	v_add_co_u32_e32 v39, vcc, v39, v18
	v_addc_co_u32_e32 v40, vcc, v40, v19, vcc
	v_cmp_lt_u64_e32 vcc, 3, v[41:42]
	s_or_b64 s[24:25], vcc, s[24:25]
	v_fma_f64 v[65:66], v[8:9], v[67:68], v[65:66]
	ds_read_b64 v[67:68], v71 offset:256
	s_waitcnt lgkmcnt(0)
	v_fma_f64 v[65:66], v[37:38], v[67:68], v[65:66]
	v_add_u32_e32 v67, v63, v64
	v_add_u32_e32 v64, v64, v52
	s_waitcnt vmcnt(0)
	v_mul_f64 v[65:66], v[69:70], v[65:66]
	ds_write_b64 v67, v[65:66]
	s_andn2_b64 exec, exec, s[24:25]
	s_cbranch_execnz .LBB4_50
	s_branch .LBB4_47
.LBB4_51:                               ;   in Loop: Header=BB4_15 Depth=1
	s_or_b64 exec, exec, s[16:17]
	s_waitcnt lgkmcnt(0)
	; wave barrier
	s_and_saveexec_b64 s[6:7], s[2:3]
	s_cbranch_execz .LBB4_60
; %bb.52:                               ;   in Loop: Header=BB4_15 Depth=1
	v_mov_b32_e32 v33, v3
	s_mov_b64 s[16:17], 0
	v_mov_b32_e32 v38, v49
	v_mov_b32_e32 v32, v2
	s_branch .LBB4_54
.LBB4_53:                               ;   in Loop: Header=BB4_54 Depth=2
	s_or_b64 exec, exec, s[18:19]
	v_add_co_u32_e32 v32, vcc, s33, v32
	v_addc_co_u32_e32 v33, vcc, 0, v33, vcc
	v_cmp_lt_u64_e32 vcc, 3, v[32:33]
	v_add_u32_e32 v38, s28, v38
	s_or_b64 s[16:17], vcc, s[16:17]
	s_andn2_b64 exec, exec, s[16:17]
	s_cbranch_execz .LBB4_60
.LBB4_54:                               ;   Parent Loop BB4_15 Depth=1
                                        ; =>  This Loop Header: Depth=2
                                        ;       Child Loop BB4_57 Depth 3
                                        ;         Child Loop BB4_59 Depth 4
	s_and_saveexec_b64 s[18:19], s[10:11]
	s_cbranch_execz .LBB4_53
; %bb.55:                               ;   in Loop: Header=BB4_54 Depth=2
	v_mov_b32_e32 v35, v5
	v_lshl_add_u32 v39, v32, 7, v61
	s_mov_b64 s[20:21], 0
	v_mov_b32_e32 v40, v38
	v_mov_b32_e32 v34, v4
	s_branch .LBB4_57
.LBB4_56:                               ;   in Loop: Header=BB4_57 Depth=3
	s_or_b64 exec, exec, s[22:23]
	v_add_co_u32_e32 v34, vcc, v34, v14
	v_addc_co_u32_e32 v35, vcc, v35, v15, vcc
	v_cmp_lt_u64_e32 vcc, 3, v[34:35]
	v_add_u32_e32 v40, v40, v22
	s_or_b64 s[20:21], vcc, s[20:21]
	s_andn2_b64 exec, exec, s[20:21]
	s_cbranch_execz .LBB4_53
.LBB4_57:                               ;   Parent Loop BB4_15 Depth=1
                                        ;     Parent Loop BB4_54 Depth=2
                                        ; =>    This Loop Header: Depth=3
                                        ;         Child Loop BB4_59 Depth 4
	s_and_saveexec_b64 s[22:23], s[12:13]
	s_cbranch_execz .LBB4_56
; %bb.58:                               ;   in Loop: Header=BB4_57 Depth=3
	v_lshl_add_u32 v10, v34, 5, v39
	ds_read_b128 v[6:9], v10
	ds_read_b128 v[10:13], v10 offset:16
	v_mov_b32_e32 v37, v1
	s_mov_b64 s[24:25], 0
	v_mov_b32_e32 v41, v58
	v_mov_b32_e32 v42, v40
	v_mov_b32_e32 v36, v0
.LBB4_59:                               ;   Parent Loop BB4_15 Depth=1
                                        ;     Parent Loop BB4_54 Depth=2
                                        ;       Parent Loop BB4_57 Depth=3
                                        ; =>      This Inner Loop Header: Depth=4
	ds_read_b128 v[62:65], v41
	ds_read_b128 v[66:69], v41 offset:16
	v_add_co_u32_e32 v36, vcc, v36, v16
	v_addc_co_u32_e32 v37, vcc, v37, v17, vcc
	s_waitcnt lgkmcnt(1)
	v_fma_f64 v[62:63], v[6:7], v[62:63], 0
	v_cmp_lt_u64_e32 vcc, 2, v[36:37]
	v_add_u32_e32 v41, v41, v59
	s_or_b64 s[24:25], vcc, s[24:25]
	v_fma_f64 v[62:63], v[8:9], v[64:65], v[62:63]
	s_waitcnt lgkmcnt(0)
	v_fma_f64 v[62:63], v[10:11], v[66:67], v[62:63]
	v_fma_f64 v[62:63], v[12:13], v[68:69], v[62:63]
	ds_write_b64 v42, v[62:63]
	v_add_u32_e32 v42, v42, v52
	s_andn2_b64 exec, exec, s[24:25]
	s_cbranch_execnz .LBB4_59
	s_branch .LBB4_56
.LBB4_60:                               ;   in Loop: Header=BB4_15 Depth=1
	s_or_b64 exec, exec, s[6:7]
	s_waitcnt lgkmcnt(0)
	; wave barrier
	s_and_saveexec_b64 s[6:7], s[2:3]
	s_cbranch_execz .LBB4_69
; %bb.61:                               ;   in Loop: Header=BB4_15 Depth=1
	v_mov_b32_e32 v33, v3
	s_mov_b64 s[16:17], 0
	v_mov_b32_e32 v38, v45
	v_mov_b32_e32 v39, v60
	;; [unrolled: 1-line block ×3, first 2 shown]
	s_branch .LBB4_63
.LBB4_62:                               ;   in Loop: Header=BB4_63 Depth=2
	s_or_b64 exec, exec, s[18:19]
	v_add_co_u32_e32 v32, vcc, s33, v32
	v_addc_co_u32_e32 v33, vcc, 0, v33, vcc
	v_cmp_lt_u64_e32 vcc, 3, v[32:33]
	v_add_u32_e32 v39, s27, v39
	s_or_b64 s[16:17], vcc, s[16:17]
	v_add_u32_e32 v38, s28, v38
	s_andn2_b64 exec, exec, s[16:17]
	s_cbranch_execz .LBB4_69
.LBB4_63:                               ;   Parent Loop BB4_15 Depth=1
                                        ; =>  This Loop Header: Depth=2
                                        ;       Child Loop BB4_66 Depth 3
                                        ;         Child Loop BB4_68 Depth 4
	s_and_saveexec_b64 s[18:19], s[4:5]
	s_cbranch_execz .LBB4_62
; %bb.64:                               ;   in Loop: Header=BB4_63 Depth=2
	v_mov_b32_e32 v35, v5
	s_mov_b64 s[20:21], 0
	v_mov_b32_e32 v40, v39
	v_mov_b32_e32 v34, v4
	s_branch .LBB4_66
.LBB4_65:                               ;   in Loop: Header=BB4_66 Depth=3
	s_or_b64 exec, exec, s[22:23]
	v_add_co_u32_e32 v34, vcc, v34, v14
	v_addc_co_u32_e32 v35, vcc, v35, v15, vcc
	v_cmp_lt_u64_e32 vcc, 2, v[34:35]
	v_add_u32_e32 v40, v40, v22
	s_or_b64 s[20:21], vcc, s[20:21]
	s_andn2_b64 exec, exec, s[20:21]
	s_cbranch_execz .LBB4_62
.LBB4_66:                               ;   Parent Loop BB4_15 Depth=1
                                        ;     Parent Loop BB4_63 Depth=2
                                        ; =>    This Loop Header: Depth=3
                                        ;         Child Loop BB4_68 Depth 4
	s_and_saveexec_b64 s[22:23], s[12:13]
	s_cbranch_execz .LBB4_65
; %bb.67:                               ;   in Loop: Header=BB4_66 Depth=3
	v_lshlrev_b32_e32 v10, 5, v34
	ds_read_b128 v[6:9], v10 offset:1120
	ds_read_b128 v[10:13], v10 offset:1136
	v_mov_b32_e32 v37, v1
	v_mov_b32_e32 v41, 0
	s_mov_b64 s[24:25], 0
	v_mov_b32_e32 v36, v0
.LBB4_68:                               ;   Parent Loop BB4_15 Depth=1
                                        ;     Parent Loop BB4_63 Depth=2
                                        ;       Parent Loop BB4_66 Depth=3
                                        ; =>      This Inner Loop Header: Depth=4
	v_add_u32_e32 v66, v38, v41
	ds_read2_b64 v[62:65], v66 offset1:3
	v_add_co_u32_e32 v36, vcc, v36, v16
	v_addc_co_u32_e32 v37, vcc, v37, v17, vcc
	s_waitcnt lgkmcnt(0)
	v_fma_f64 v[42:43], v[6:7], v[62:63], 0
	v_cmp_lt_u64_e32 vcc, 2, v[36:37]
	s_or_b64 s[24:25], vcc, s[24:25]
	v_fma_f64 v[42:43], v[8:9], v[64:65], v[42:43]
	ds_read2_b64 v[62:65], v66 offset0:6 offset1:9
	s_waitcnt lgkmcnt(0)
	v_fma_f64 v[42:43], v[10:11], v[62:63], v[42:43]
	v_add_u32_e32 v62, v40, v41
	v_add_u32_e32 v41, v41, v52
	v_fma_f64 v[42:43], v[12:13], v[64:65], v[42:43]
	ds_write_b64 v62, v[42:43]
	s_andn2_b64 exec, exec, s[24:25]
	s_cbranch_execnz .LBB4_68
	s_branch .LBB4_65
.LBB4_69:                               ;   in Loop: Header=BB4_15 Depth=1
	s_or_b64 exec, exec, s[6:7]
	s_waitcnt lgkmcnt(0)
	; wave barrier
	s_and_saveexec_b64 s[16:17], s[0:1]
	s_cbranch_execz .LBB4_14
; %bb.70:                               ;   in Loop: Header=BB4_15 Depth=1
	v_mov_b32_e32 v33, v28
	v_mov_b32_e32 v35, v3
	s_mov_b64 s[18:19], 0
	v_mov_b32_e32 v32, v27
	v_mov_b32_e32 v34, v2
	s_branch .LBB4_72
.LBB4_71:                               ;   in Loop: Header=BB4_72 Depth=2
	s_or_b64 exec, exec, s[20:21]
	v_add_co_u32_e32 v34, vcc, s33, v34
	v_addc_co_u32_e32 v35, vcc, 0, v35, vcc
	v_cmp_lt_u64_e32 vcc, 2, v[34:35]
	s_or_b64 s[18:19], vcc, s[18:19]
	v_add_co_u32_e32 v32, vcc, s27, v32
	v_addc_co_u32_e32 v33, vcc, 0, v33, vcc
	s_andn2_b64 exec, exec, s[18:19]
	s_cbranch_execz .LBB4_14
.LBB4_72:                               ;   Parent Loop BB4_15 Depth=1
                                        ; =>  This Loop Header: Depth=2
                                        ;       Child Loop BB4_75 Depth 3
                                        ;         Child Loop BB4_77 Depth 4
	s_and_saveexec_b64 s[20:21], s[4:5]
	s_cbranch_execz .LBB4_71
; %bb.73:                               ;   in Loop: Header=BB4_72 Depth=2
	v_mov_b32_e32 v37, v33
	v_mov_b32_e32 v39, v5
	v_lshl_add_u32 v62, v34, 5, v57
	s_mov_b64 s[22:23], 0
	v_mov_b32_e32 v63, v51
	v_mov_b32_e32 v36, v32
	;; [unrolled: 1-line block ×3, first 2 shown]
	s_branch .LBB4_75
.LBB4_74:                               ;   in Loop: Header=BB4_75 Depth=3
	s_or_b64 exec, exec, s[6:7]
	v_add_co_u32_e32 v38, vcc, v38, v14
	v_addc_co_u32_e32 v39, vcc, v39, v15, vcc
	v_cmp_lt_u64_e32 vcc, 2, v[38:39]
	v_add_co_u32_e64 v36, s[6:7], v36, v22
	v_addc_co_u32_e64 v37, s[6:7], v37, v44, s[6:7]
	s_or_b64 s[22:23], vcc, s[22:23]
	v_add_u32_e32 v63, v63, v22
	s_andn2_b64 exec, exec, s[22:23]
	s_cbranch_execz .LBB4_71
.LBB4_75:                               ;   Parent Loop BB4_15 Depth=1
                                        ;     Parent Loop BB4_72 Depth=2
                                        ; =>    This Loop Header: Depth=3
                                        ;         Child Loop BB4_77 Depth 4
	s_and_saveexec_b64 s[6:7], s[12:13]
	s_cbranch_execz .LBB4_74
; %bb.76:                               ;   in Loop: Header=BB4_75 Depth=3
	ds_read_b128 v[6:9], v62
	ds_read_b128 v[10:13], v62 offset:16
	v_mov_b32_e32 v41, v37
	v_mov_b32_e32 v43, v1
	s_mov_b64 s[24:25], 0
	v_mov_b32_e32 v64, v63
	v_mov_b32_e32 v40, v36
	;; [unrolled: 1-line block ×3, first 2 shown]
.LBB4_77:                               ;   Parent Loop BB4_15 Depth=1
                                        ;     Parent Loop BB4_72 Depth=2
                                        ;       Parent Loop BB4_75 Depth=3
                                        ; =>      This Inner Loop Header: Depth=4
	ds_read2_b64 v[65:68], v64 offset1:9
	v_add_co_u32_e32 v42, vcc, v42, v16
	v_addc_co_u32_e32 v43, vcc, v43, v17, vcc
	s_waitcnt lgkmcnt(0)
	v_fma_f64 v[65:66], v[65:66], v[6:7], 0
	v_cmp_lt_u64_e32 vcc, 2, v[42:43]
	s_or_b64 s[24:25], vcc, s[24:25]
	v_fma_f64 v[69:70], v[67:68], v[8:9], v[65:66]
	ds_read2_b64 v[65:68], v64 offset0:18 offset1:27
	v_add_u32_e32 v64, v64, v52
	s_waitcnt lgkmcnt(0)
	v_fma_f64 v[65:66], v[65:66], v[10:11], v[69:70]
	v_fma_f64 v[65:66], v[67:68], v[12:13], v[65:66]
	global_store_dwordx2 v[40:41], v[65:66], off
	v_add_co_u32_e32 v40, vcc, v40, v18
	v_addc_co_u32_e32 v41, vcc, v41, v19, vcc
	s_andn2_b64 exec, exec, s[24:25]
	s_cbranch_execnz .LBB4_77
	s_branch .LBB4_74
.LBB4_78:
	s_endpgm
	.section	.rodata,"a",@progbits
	.p2align	6, 0x0
	.amdhsa_kernel _ZN4RAJA34launch_new_reduce_global_fcn_fixedIZN8rajaperf4apps11MASSVEC3DPA17runHipVariantImplILm64ELm2EEEvNS1_9VariantIDEEUlNS_14LaunchContextTINS_3hip33LaunchContextIndicesAndDimsPolicyINS7_14IndicesAndDimsILb0ELb0ELb1ELb0EEEEEEEE_Li64ENS_4expt15ForallParamPackIJEEEEEvT_T1_
		.amdhsa_group_segment_fixed_size 1216
		.amdhsa_private_segment_fixed_size 0
		.amdhsa_kernarg_size 304
		.amdhsa_user_sgpr_count 6
		.amdhsa_user_sgpr_private_segment_buffer 1
		.amdhsa_user_sgpr_dispatch_ptr 0
		.amdhsa_user_sgpr_queue_ptr 0
		.amdhsa_user_sgpr_kernarg_segment_ptr 1
		.amdhsa_user_sgpr_dispatch_id 0
		.amdhsa_user_sgpr_flat_scratch_init 0
		.amdhsa_user_sgpr_private_segment_size 0
		.amdhsa_uses_dynamic_stack 0
		.amdhsa_system_sgpr_private_segment_wavefront_offset 0
		.amdhsa_system_sgpr_workgroup_id_x 1
		.amdhsa_system_sgpr_workgroup_id_y 0
		.amdhsa_system_sgpr_workgroup_id_z 0
		.amdhsa_system_sgpr_workgroup_info 0
		.amdhsa_system_vgpr_workitem_id 2
		.amdhsa_next_free_vgpr 72
		.amdhsa_next_free_sgpr 36
		.amdhsa_reserve_vcc 1
		.amdhsa_reserve_flat_scratch 0
		.amdhsa_float_round_mode_32 0
		.amdhsa_float_round_mode_16_64 0
		.amdhsa_float_denorm_mode_32 3
		.amdhsa_float_denorm_mode_16_64 3
		.amdhsa_dx10_clamp 1
		.amdhsa_ieee_mode 1
		.amdhsa_fp16_overflow 0
		.amdhsa_exception_fp_ieee_invalid_op 0
		.amdhsa_exception_fp_denorm_src 0
		.amdhsa_exception_fp_ieee_div_zero 0
		.amdhsa_exception_fp_ieee_overflow 0
		.amdhsa_exception_fp_ieee_underflow 0
		.amdhsa_exception_fp_ieee_inexact 0
		.amdhsa_exception_int_div_zero 0
	.end_amdhsa_kernel
	.section	.text._ZN4RAJA34launch_new_reduce_global_fcn_fixedIZN8rajaperf4apps11MASSVEC3DPA17runHipVariantImplILm64ELm2EEEvNS1_9VariantIDEEUlNS_14LaunchContextTINS_3hip33LaunchContextIndicesAndDimsPolicyINS7_14IndicesAndDimsILb0ELb0ELb1ELb0EEEEEEEE_Li64ENS_4expt15ForallParamPackIJEEEEEvT_T1_,"axG",@progbits,_ZN4RAJA34launch_new_reduce_global_fcn_fixedIZN8rajaperf4apps11MASSVEC3DPA17runHipVariantImplILm64ELm2EEEvNS1_9VariantIDEEUlNS_14LaunchContextTINS_3hip33LaunchContextIndicesAndDimsPolicyINS7_14IndicesAndDimsILb0ELb0ELb1ELb0EEEEEEEE_Li64ENS_4expt15ForallParamPackIJEEEEEvT_T1_,comdat
.Lfunc_end4:
	.size	_ZN4RAJA34launch_new_reduce_global_fcn_fixedIZN8rajaperf4apps11MASSVEC3DPA17runHipVariantImplILm64ELm2EEEvNS1_9VariantIDEEUlNS_14LaunchContextTINS_3hip33LaunchContextIndicesAndDimsPolicyINS7_14IndicesAndDimsILb0ELb0ELb1ELb0EEEEEEEE_Li64ENS_4expt15ForallParamPackIJEEEEEvT_T1_, .Lfunc_end4-_ZN4RAJA34launch_new_reduce_global_fcn_fixedIZN8rajaperf4apps11MASSVEC3DPA17runHipVariantImplILm64ELm2EEEvNS1_9VariantIDEEUlNS_14LaunchContextTINS_3hip33LaunchContextIndicesAndDimsPolicyINS7_14IndicesAndDimsILb0ELb0ELb1ELb0EEEEEEEE_Li64ENS_4expt15ForallParamPackIJEEEEEvT_T1_
                                        ; -- End function
	.set _ZN4RAJA34launch_new_reduce_global_fcn_fixedIZN8rajaperf4apps11MASSVEC3DPA17runHipVariantImplILm64ELm2EEEvNS1_9VariantIDEEUlNS_14LaunchContextTINS_3hip33LaunchContextIndicesAndDimsPolicyINS7_14IndicesAndDimsILb0ELb0ELb1ELb0EEEEEEEE_Li64ENS_4expt15ForallParamPackIJEEEEEvT_T1_.num_vgpr, 72
	.set _ZN4RAJA34launch_new_reduce_global_fcn_fixedIZN8rajaperf4apps11MASSVEC3DPA17runHipVariantImplILm64ELm2EEEvNS1_9VariantIDEEUlNS_14LaunchContextTINS_3hip33LaunchContextIndicesAndDimsPolicyINS7_14IndicesAndDimsILb0ELb0ELb1ELb0EEEEEEEE_Li64ENS_4expt15ForallParamPackIJEEEEEvT_T1_.num_agpr, 0
	.set _ZN4RAJA34launch_new_reduce_global_fcn_fixedIZN8rajaperf4apps11MASSVEC3DPA17runHipVariantImplILm64ELm2EEEvNS1_9VariantIDEEUlNS_14LaunchContextTINS_3hip33LaunchContextIndicesAndDimsPolicyINS7_14IndicesAndDimsILb0ELb0ELb1ELb0EEEEEEEE_Li64ENS_4expt15ForallParamPackIJEEEEEvT_T1_.numbered_sgpr, 36
	.set _ZN4RAJA34launch_new_reduce_global_fcn_fixedIZN8rajaperf4apps11MASSVEC3DPA17runHipVariantImplILm64ELm2EEEvNS1_9VariantIDEEUlNS_14LaunchContextTINS_3hip33LaunchContextIndicesAndDimsPolicyINS7_14IndicesAndDimsILb0ELb0ELb1ELb0EEEEEEEE_Li64ENS_4expt15ForallParamPackIJEEEEEvT_T1_.num_named_barrier, 0
	.set _ZN4RAJA34launch_new_reduce_global_fcn_fixedIZN8rajaperf4apps11MASSVEC3DPA17runHipVariantImplILm64ELm2EEEvNS1_9VariantIDEEUlNS_14LaunchContextTINS_3hip33LaunchContextIndicesAndDimsPolicyINS7_14IndicesAndDimsILb0ELb0ELb1ELb0EEEEEEEE_Li64ENS_4expt15ForallParamPackIJEEEEEvT_T1_.private_seg_size, 0
	.set _ZN4RAJA34launch_new_reduce_global_fcn_fixedIZN8rajaperf4apps11MASSVEC3DPA17runHipVariantImplILm64ELm2EEEvNS1_9VariantIDEEUlNS_14LaunchContextTINS_3hip33LaunchContextIndicesAndDimsPolicyINS7_14IndicesAndDimsILb0ELb0ELb1ELb0EEEEEEEE_Li64ENS_4expt15ForallParamPackIJEEEEEvT_T1_.uses_vcc, 1
	.set _ZN4RAJA34launch_new_reduce_global_fcn_fixedIZN8rajaperf4apps11MASSVEC3DPA17runHipVariantImplILm64ELm2EEEvNS1_9VariantIDEEUlNS_14LaunchContextTINS_3hip33LaunchContextIndicesAndDimsPolicyINS7_14IndicesAndDimsILb0ELb0ELb1ELb0EEEEEEEE_Li64ENS_4expt15ForallParamPackIJEEEEEvT_T1_.uses_flat_scratch, 0
	.set _ZN4RAJA34launch_new_reduce_global_fcn_fixedIZN8rajaperf4apps11MASSVEC3DPA17runHipVariantImplILm64ELm2EEEvNS1_9VariantIDEEUlNS_14LaunchContextTINS_3hip33LaunchContextIndicesAndDimsPolicyINS7_14IndicesAndDimsILb0ELb0ELb1ELb0EEEEEEEE_Li64ENS_4expt15ForallParamPackIJEEEEEvT_T1_.has_dyn_sized_stack, 0
	.set _ZN4RAJA34launch_new_reduce_global_fcn_fixedIZN8rajaperf4apps11MASSVEC3DPA17runHipVariantImplILm64ELm2EEEvNS1_9VariantIDEEUlNS_14LaunchContextTINS_3hip33LaunchContextIndicesAndDimsPolicyINS7_14IndicesAndDimsILb0ELb0ELb1ELb0EEEEEEEE_Li64ENS_4expt15ForallParamPackIJEEEEEvT_T1_.has_recursion, 0
	.set _ZN4RAJA34launch_new_reduce_global_fcn_fixedIZN8rajaperf4apps11MASSVEC3DPA17runHipVariantImplILm64ELm2EEEvNS1_9VariantIDEEUlNS_14LaunchContextTINS_3hip33LaunchContextIndicesAndDimsPolicyINS7_14IndicesAndDimsILb0ELb0ELb1ELb0EEEEEEEE_Li64ENS_4expt15ForallParamPackIJEEEEEvT_T1_.has_indirect_call, 0
	.section	.AMDGPU.csdata,"",@progbits
; Kernel info:
; codeLenInByte = 3068
; TotalNumSgprs: 40
; NumVgprs: 72
; ScratchSize: 0
; MemoryBound: 0
; FloatMode: 240
; IeeeMode: 1
; LDSByteSize: 1216 bytes/workgroup (compile time only)
; SGPRBlocks: 4
; VGPRBlocks: 17
; NumSGPRsForWavesPerEU: 40
; NumVGPRsForWavesPerEU: 72
; Occupancy: 3
; WaveLimiterHint : 0
; COMPUTE_PGM_RSRC2:SCRATCH_EN: 0
; COMPUTE_PGM_RSRC2:USER_SGPR: 6
; COMPUTE_PGM_RSRC2:TRAP_HANDLER: 0
; COMPUTE_PGM_RSRC2:TGID_X_EN: 1
; COMPUTE_PGM_RSRC2:TGID_Y_EN: 0
; COMPUTE_PGM_RSRC2:TGID_Z_EN: 0
; COMPUTE_PGM_RSRC2:TIDIG_COMP_CNT: 2
	.section	.AMDGPU.gpr_maximums,"",@progbits
	.set amdgpu.max_num_vgpr, 0
	.set amdgpu.max_num_agpr, 0
	.set amdgpu.max_num_sgpr, 0
	.section	.AMDGPU.csdata,"",@progbits
	.type	__hip_cuid_3c55477d15b21c73,@object ; @__hip_cuid_3c55477d15b21c73
	.section	.bss,"aw",@nobits
	.globl	__hip_cuid_3c55477d15b21c73
__hip_cuid_3c55477d15b21c73:
	.byte	0                               ; 0x0
	.size	__hip_cuid_3c55477d15b21c73, 1

	.ident	"AMD clang version 22.0.0git (https://github.com/RadeonOpenCompute/llvm-project roc-7.2.4 26084 f58b06dce1f9c15707c5f808fd002e18c2accf7e)"
	.section	".note.GNU-stack","",@progbits
	.addrsig
	.addrsig_sym __hip_cuid_3c55477d15b21c73
	.amdgpu_metadata
---
amdhsa.kernels:
  - .args:
      - .address_space:  global
        .offset:         0
        .size:           8
        .value_kind:     global_buffer
      - .address_space:  global
        .offset:         8
        .size:           8
        .value_kind:     global_buffer
      - .address_space:  global
        .offset:         16
        .size:           8
        .value_kind:     global_buffer
      - .address_space:  global
        .offset:         24
        .size:           8
        .value_kind:     global_buffer
      - .offset:         32
        .size:           4
        .value_kind:     hidden_block_count_x
      - .offset:         36
        .size:           4
        .value_kind:     hidden_block_count_y
      - .offset:         40
        .size:           4
        .value_kind:     hidden_block_count_z
      - .offset:         44
        .size:           2
        .value_kind:     hidden_group_size_x
      - .offset:         46
        .size:           2
        .value_kind:     hidden_group_size_y
      - .offset:         48
        .size:           2
        .value_kind:     hidden_group_size_z
      - .offset:         50
        .size:           2
        .value_kind:     hidden_remainder_x
      - .offset:         52
        .size:           2
        .value_kind:     hidden_remainder_y
      - .offset:         54
        .size:           2
        .value_kind:     hidden_remainder_z
      - .offset:         72
        .size:           8
        .value_kind:     hidden_global_offset_x
      - .offset:         80
        .size:           8
        .value_kind:     hidden_global_offset_y
      - .offset:         88
        .size:           8
        .value_kind:     hidden_global_offset_z
      - .offset:         96
        .size:           2
        .value_kind:     hidden_grid_dims
    .group_segment_fixed_size: 1216
    .kernarg_segment_align: 8
    .kernarg_segment_size: 288
    .language:       OpenCL C
    .language_version:
      - 2
      - 0
    .max_flat_workgroup_size: 64
    .name:           _ZN8rajaperf4apps15MassVec3DPALoopILm64EEEvPdS2_S2_S2_
    .private_segment_fixed_size: 0
    .sgpr_count:     33
    .sgpr_spill_count: 0
    .symbol:         _ZN8rajaperf4apps15MassVec3DPALoopILm64EEEvPdS2_S2_S2_.kd
    .uniform_work_group_size: 1
    .uses_dynamic_stack: false
    .vgpr_count:     62
    .vgpr_spill_count: 0
    .wavefront_size: 64
  - .args:
      - .offset:         0
        .size:           40
        .value_kind:     by_value
      - .offset:         40
        .size:           1
        .value_kind:     by_value
      - .offset:         48
        .size:           4
        .value_kind:     hidden_block_count_x
      - .offset:         52
        .size:           4
        .value_kind:     hidden_block_count_y
      - .offset:         56
        .size:           4
        .value_kind:     hidden_block_count_z
      - .offset:         60
        .size:           2
        .value_kind:     hidden_group_size_x
      - .offset:         62
        .size:           2
        .value_kind:     hidden_group_size_y
      - .offset:         64
        .size:           2
        .value_kind:     hidden_group_size_z
      - .offset:         66
        .size:           2
        .value_kind:     hidden_remainder_x
      - .offset:         68
        .size:           2
        .value_kind:     hidden_remainder_y
      - .offset:         70
        .size:           2
        .value_kind:     hidden_remainder_z
      - .offset:         88
        .size:           8
        .value_kind:     hidden_global_offset_x
      - .offset:         96
        .size:           8
        .value_kind:     hidden_global_offset_y
      - .offset:         104
        .size:           8
        .value_kind:     hidden_global_offset_z
      - .offset:         112
        .size:           2
        .value_kind:     hidden_grid_dims
    .group_segment_fixed_size: 1216
    .kernarg_segment_align: 8
    .kernarg_segment_size: 304
    .language:       OpenCL C
    .language_version:
      - 2
      - 0
    .max_flat_workgroup_size: 64
    .name:           _ZN4RAJA34launch_new_reduce_global_fcn_fixedIZN8rajaperf4apps11MASSVEC3DPA17runHipVariantImplILm64ELm0EEEvNS1_9VariantIDEEUlNS_14LaunchContextTINS_3hip33LaunchContextIndicesAndDimsPolicyINS7_14IndicesAndDimsILb0ELb0ELb0ELb0EEEEEEEE_Li64ENS_4expt15ForallParamPackIJEEEEEvT_T1_
    .private_segment_fixed_size: 0
    .sgpr_count:     42
    .sgpr_spill_count: 0
    .symbol:         _ZN4RAJA34launch_new_reduce_global_fcn_fixedIZN8rajaperf4apps11MASSVEC3DPA17runHipVariantImplILm64ELm0EEEvNS1_9VariantIDEEUlNS_14LaunchContextTINS_3hip33LaunchContextIndicesAndDimsPolicyINS7_14IndicesAndDimsILb0ELb0ELb0ELb0EEEEEEEE_Li64ENS_4expt15ForallParamPackIJEEEEEvT_T1_.kd
    .uniform_work_group_size: 1
    .uses_dynamic_stack: false
    .vgpr_count:     62
    .vgpr_spill_count: 0
    .wavefront_size: 64
  - .args:
      - .address_space:  global
        .offset:         0
        .size:           8
        .value_kind:     global_buffer
      - .address_space:  global
        .offset:         8
        .size:           8
        .value_kind:     global_buffer
      - .address_space:  global
        .offset:         16
        .size:           8
        .value_kind:     global_buffer
      - .address_space:  global
        .offset:         24
        .size:           8
        .value_kind:     global_buffer
    .group_segment_fixed_size: 1216
    .kernarg_segment_align: 8
    .kernarg_segment_size: 32
    .language:       OpenCL C
    .language_version:
      - 2
      - 0
    .max_flat_workgroup_size: 64
    .name:           _ZN8rajaperf4apps17MassVec3DPADirectILm64EEEvPdS2_S2_S2_
    .private_segment_fixed_size: 0
    .sgpr_count:     26
    .sgpr_spill_count: 0
    .symbol:         _ZN8rajaperf4apps17MassVec3DPADirectILm64EEEvPdS2_S2_S2_.kd
    .uniform_work_group_size: 1
    .uses_dynamic_stack: false
    .vgpr_count:     46
    .vgpr_spill_count: 0
    .wavefront_size: 64
  - .args:
      - .offset:         0
        .size:           40
        .value_kind:     by_value
      - .offset:         40
        .size:           1
        .value_kind:     by_value
    .group_segment_fixed_size: 1216
    .kernarg_segment_align: 8
    .kernarg_segment_size: 44
    .language:       OpenCL C
    .language_version:
      - 2
      - 0
    .max_flat_workgroup_size: 64
    .name:           _ZN4RAJA34launch_new_reduce_global_fcn_fixedIZN8rajaperf4apps11MASSVEC3DPA17runHipVariantImplILm64ELm1EEEvNS1_9VariantIDEEUlNS_14LaunchContextTINS_3hip33LaunchContextIndicesAndDimsPolicyINS7_14IndicesAndDimsILb0ELb0ELb0ELb0EEEEEEEE_Li64ENS_4expt15ForallParamPackIJEEEEEvT_T1_
    .private_segment_fixed_size: 0
    .sgpr_count:     29
    .sgpr_spill_count: 0
    .symbol:         _ZN4RAJA34launch_new_reduce_global_fcn_fixedIZN8rajaperf4apps11MASSVEC3DPA17runHipVariantImplILm64ELm1EEEvNS1_9VariantIDEEUlNS_14LaunchContextTINS_3hip33LaunchContextIndicesAndDimsPolicyINS7_14IndicesAndDimsILb0ELb0ELb0ELb0EEEEEEEE_Li64ENS_4expt15ForallParamPackIJEEEEEvT_T1_.kd
    .uniform_work_group_size: 1
    .uses_dynamic_stack: false
    .vgpr_count:     47
    .vgpr_spill_count: 0
    .wavefront_size: 64
  - .args:
      - .offset:         0
        .size:           40
        .value_kind:     by_value
      - .offset:         40
        .size:           1
        .value_kind:     by_value
      - .offset:         48
        .size:           4
        .value_kind:     hidden_block_count_x
      - .offset:         52
        .size:           4
        .value_kind:     hidden_block_count_y
      - .offset:         56
        .size:           4
        .value_kind:     hidden_block_count_z
      - .offset:         60
        .size:           2
        .value_kind:     hidden_group_size_x
      - .offset:         62
        .size:           2
        .value_kind:     hidden_group_size_y
      - .offset:         64
        .size:           2
        .value_kind:     hidden_group_size_z
      - .offset:         66
        .size:           2
        .value_kind:     hidden_remainder_x
      - .offset:         68
        .size:           2
        .value_kind:     hidden_remainder_y
      - .offset:         70
        .size:           2
        .value_kind:     hidden_remainder_z
      - .offset:         88
        .size:           8
        .value_kind:     hidden_global_offset_x
      - .offset:         96
        .size:           8
        .value_kind:     hidden_global_offset_y
      - .offset:         104
        .size:           8
        .value_kind:     hidden_global_offset_z
      - .offset:         112
        .size:           2
        .value_kind:     hidden_grid_dims
    .group_segment_fixed_size: 1216
    .kernarg_segment_align: 8
    .kernarg_segment_size: 304
    .language:       OpenCL C
    .language_version:
      - 2
      - 0
    .max_flat_workgroup_size: 64
    .name:           _ZN4RAJA34launch_new_reduce_global_fcn_fixedIZN8rajaperf4apps11MASSVEC3DPA17runHipVariantImplILm64ELm2EEEvNS1_9VariantIDEEUlNS_14LaunchContextTINS_3hip33LaunchContextIndicesAndDimsPolicyINS7_14IndicesAndDimsILb0ELb0ELb1ELb0EEEEEEEE_Li64ENS_4expt15ForallParamPackIJEEEEEvT_T1_
    .private_segment_fixed_size: 0
    .sgpr_count:     40
    .sgpr_spill_count: 0
    .symbol:         _ZN4RAJA34launch_new_reduce_global_fcn_fixedIZN8rajaperf4apps11MASSVEC3DPA17runHipVariantImplILm64ELm2EEEvNS1_9VariantIDEEUlNS_14LaunchContextTINS_3hip33LaunchContextIndicesAndDimsPolicyINS7_14IndicesAndDimsILb0ELb0ELb1ELb0EEEEEEEE_Li64ENS_4expt15ForallParamPackIJEEEEEvT_T1_.kd
    .uniform_work_group_size: 1
    .uses_dynamic_stack: false
    .vgpr_count:     72
    .vgpr_spill_count: 0
    .wavefront_size: 64
amdhsa.target:   amdgcn-amd-amdhsa--gfx906
amdhsa.version:
  - 1
  - 2
...

	.end_amdgpu_metadata
